;; amdgpu-corpus repo=zjin-lcf/HeCBench kind=compiled arch=gfx1250 opt=O3
	.amdgcn_target "amdgcn-amd-amdhsa--gfx1250"
	.amdhsa_code_object_version 6
	.text
	.protected	_Z14genScoreKerneliPfPKiPKf ; -- Begin function _Z14genScoreKerneliPfPKiPKf
	.globl	_Z14genScoreKerneliPfPKiPKf
	.p2align	8
	.type	_Z14genScoreKerneliPfPKiPKf,@function
_Z14genScoreKerneliPfPKiPKf:            ; @_Z14genScoreKerneliPfPKiPKf
; %bb.0:
	s_load_b32 s16, s[0:1], 0x0
	s_bfe_u32 s2, ttmp6, 0x4000c
	s_and_b32 s3, ttmp6, 15
	s_add_co_i32 s2, s2, 1
	s_mov_b32 s4, 0
	s_mul_i32 s2, ttmp9, s2
	s_mov_b32 s6, s4
	s_add_co_i32 s3, s3, s2
	s_getreg_b32 s2, hwreg(HW_REG_IB_STS2, 6, 4)
	s_mov_b32 s7, s4
	s_cmp_eq_u32 s2, 0
	s_mov_b32 s5, s4
	v_mov_b64_e32 v[8:9], s[6:7]
	s_cselect_b32 s2, ttmp9, s3
	v_mov_b64_e32 v[6:7], s[4:5]
	v_mov_b32_e32 v4, 0
	v_lshl_add_u32 v13, s2, 8, v0
	s_clause 0xb
	scratch_store_b32 off, v4, off offset:176
	scratch_store_b128 off, v[6:9], off offset:160
	scratch_store_b128 off, v[6:9], off offset:144
	;; [unrolled: 1-line block ×10, first 2 shown]
	scratch_store_b128 off, v[6:9], off
	s_mov_b32 s2, exec_lo
	s_wait_kmcnt 0x0
	v_cmpx_gt_i32_e64 s16, v13
	s_cbranch_execz .LBB0_215
; %bb.1:
	v_mov_b32_e32 v3, -1
	s_mov_b32 s8, exec_lo
	s_delay_alu instid0(VALU_DEP_1)
	v_dual_mov_b32 v2, v3 :: v_dual_mov_b32 v1, v3
	v_mov_b32_e32 v0, v3
	v_cmpx_ne_u32_e32 0, v13
	s_cbranch_execz .LBB0_61
; %bb.2:
	v_dual_mov_b32 v4, 0 :: v_dual_mov_b32 v6, 1
	s_mov_b32 s2, exec_lo
	v_cmpx_lt_i32_e32 0, v13
	s_cbranch_execz .LBB0_14
; %bb.3:
	s_mov_b32 s4, 1
	s_mov_b32 s3, 0
	;; [unrolled: 1-line block ×3, first 2 shown]
.LBB0_4:                                ; =>This Loop Header: Depth=1
                                        ;     Child Loop BB0_6 Depth 2
                                        ;     Child Loop BB0_9 Depth 2
	;; [unrolled: 1-line block ×3, first 2 shown]
	s_cmp_lt_u32 s4, 4
	s_mov_b32 s7, 0
	s_mov_b32 s6, 1
	;; [unrolled: 1-line block ×3, first 2 shown]
	s_mov_b32 s10, -1
	s_cbranch_scc1 .LBB0_8
; %bb.5:                                ;   in Loop: Header=BB0_4 Depth=1
	s_and_b32 s7, s4, -4
	s_mov_b32 s9, 43
	s_mov_b32 s10, 44
	;; [unrolled: 1-line block ×5, first 2 shown]
.LBB0_6:                                ;   Parent Loop BB0_4 Depth=1
                                        ; =>  This Inner Loop Header: Depth=2
	s_add_co_i32 s14, s10, -2
	s_add_co_i32 s15, s9, -2
	;; [unrolled: 1-line block ×3, first 2 shown]
	s_mul_i32 s12, s12, s9
	s_mul_i32 s6, s6, s10
	s_add_co_i32 s10, s10, -4
	s_add_co_i32 s9, s9, -4
	s_mul_i32 s13, s13, s15
	s_cmp_lg_u32 s7, 0
	s_mul_i32 s11, s11, s14
	s_cbranch_scc1 .LBB0_6
; %bb.7:                                ;   in Loop: Header=BB0_4 Depth=1
	s_and_b32 s7, s4, 0x7ffffffc
	s_mul_i32 s10, s13, s12
	s_sub_co_i32 s9, 44, s7
	s_mul_i32 s6, s11, s6
	s_cmp_lg_u32 s4, s7
	s_mul_i32 s6, s6, s10
	s_cselect_b32 s10, -1, 0
.LBB0_8:                                ;   in Loop: Header=BB0_4 Depth=1
	s_delay_alu instid0(SALU_CYCLE_1)
	s_and_b32 vcc_lo, exec_lo, s10
	s_cbranch_vccz .LBB0_10
.LBB0_9:                                ;   Parent Loop BB0_4 Depth=1
                                        ; =>  This Inner Loop Header: Depth=2
	s_add_co_i32 s7, s7, 1
	s_mul_i32 s6, s6, s9
	s_add_co_i32 s9, s9, -1
	s_cmp_lg_u32 s4, s7
	s_cbranch_scc1 .LBB0_9
.LBB0_10:                               ;   in Loop: Header=BB0_4 Depth=1
	s_mov_b32 s7, s4
.LBB0_11:                               ;   Parent Loop BB0_4 Depth=1
                                        ; =>  This Inner Loop Header: Depth=2
	s_delay_alu instid0(SALU_CYCLE_1) | instskip(SKIP_4) | instid1(SALU_CYCLE_1)
	s_abs_i32 s9, s7
	s_abs_i32 s12, s6
	s_cvt_f32_u32 s10, s9
	s_sub_co_i32 s11, 0, s9
	s_xor_b32 s6, s6, s7
	s_ashr_i32 s6, s6, 31
	v_rcp_iflag_f32_e32 v0, s10
	v_nop
	s_delay_alu instid0(TRANS32_DEP_1) | instskip(SKIP_1) | instid1(SALU_CYCLE_3)
	v_readfirstlane_b32 s10, v0
	s_mul_f32 s10, s10, 0x4f7ffffe
	s_cvt_u32_f32 s10, s10
	s_delay_alu instid0(SALU_CYCLE_3) | instskip(NEXT) | instid1(SALU_CYCLE_1)
	s_mul_i32 s11, s11, s10
	s_mul_hi_u32 s11, s10, s11
	s_delay_alu instid0(SALU_CYCLE_1) | instskip(NEXT) | instid1(SALU_CYCLE_1)
	s_add_co_i32 s10, s10, s11
	s_mul_hi_u32 s10, s12, s10
	s_delay_alu instid0(SALU_CYCLE_1) | instskip(NEXT) | instid1(SALU_CYCLE_1)
	s_mul_i32 s11, s10, s9
	s_sub_co_i32 s11, s12, s11
	s_add_co_i32 s12, s10, 1
	s_sub_co_i32 s13, s11, s9
	s_cmp_ge_u32 s11, s9
	s_cselect_b32 s10, s12, s10
	s_cselect_b32 s11, s13, s11
	s_add_co_i32 s12, s10, 1
	s_cmp_ge_u32 s11, s9
	s_cselect_b32 s9, s12, s10
	s_add_co_i32 s7, s7, -1
	s_xor_b32 s9, s9, s6
	s_delay_alu instid0(SALU_CYCLE_1)
	s_sub_co_i32 s6, s9, s6
	s_cmp_lg_u32 s7, 0
	s_cbranch_scc1 .LBB0_11
; %bb.12:                               ;   in Loop: Header=BB0_4 Depth=1
	s_add_co_i32 s5, s6, s5
	s_add_co_i32 s4, s4, 1
	v_cmp_ge_i32_e32 vcc_lo, s5, v13
	v_dual_mov_b32 v6, s4 :: v_dual_mov_b32 v4, s5
	s_or_b32 s3, vcc_lo, s3
	s_delay_alu instid0(SALU_CYCLE_1)
	s_and_not1_b32 exec_lo, exec_lo, s3
	s_cbranch_execnz .LBB0_4
; %bb.13:
	s_or_b32 exec_lo, exec_lo, s3
.LBB0_14:
	s_delay_alu instid0(SALU_CYCLE_1)
	s_or_b32 exec_lo, exec_lo, s2
	v_dual_mov_b32 v0, 1 :: v_dual_add_nc_u32 v7, -1, v6
	v_cmp_lt_u32_e32 vcc_lo, 1, v6
	s_mov_b32 s4, -1
	s_and_saveexec_b32 s3, vcc_lo
	s_cbranch_execz .LBB0_24
; %bb.15:
	v_dual_mov_b32 v1, 44 :: v_dual_mov_b32 v0, 1
	v_mov_b32_e32 v5, 0
	s_mov_b32 s9, exec_lo
	v_cmpx_lt_u32_e32 4, v6
	s_cbranch_execz .LBB0_19
; %bb.16:
	v_and_b32_e32 v5, -4, v7
	s_mov_b32 s4, 1
	s_mov_b32 s10, 43
	;; [unrolled: 1-line block ×4, first 2 shown]
	v_mov_b32_e32 v8, v5
	s_mov_b32 s5, s4
	s_mov_b32 s6, s4
	;; [unrolled: 1-line block ×3, first 2 shown]
.LBB0_17:                               ; =>This Inner Loop Header: Depth=1
	s_delay_alu instid0(VALU_DEP_1)
	v_add_nc_u32_e32 v8, -4, v8
	s_add_co_i32 s13, s12, -2
	s_add_co_i32 s2, s10, -2
	s_mul_i32 s5, s5, s10
	s_mul_i32 s4, s4, s12
	;; [unrolled: 1-line block ×4, first 2 shown]
	v_cmp_eq_u32_e64 s2, 0, v8
	v_mov_b64_e32 v[0:1], s[4:5]
	v_mov_b64_e32 v[2:3], s[6:7]
	s_add_co_i32 s12, s12, -4
	s_add_co_i32 s10, s10, -4
	s_or_b32 s11, s2, s11
	s_delay_alu instid0(SALU_CYCLE_1)
	s_and_not1_b32 exec_lo, exec_lo, s11
	s_cbranch_execnz .LBB0_17
; %bb.18:
	s_or_b32 exec_lo, exec_lo, s11
	v_mul_lo_u32 v1, v3, v1
	v_mul_lo_u32 v0, v2, v0
	v_cmp_ne_u32_e64 s2, v7, v5
	s_or_not1_b32 s4, s2, exec_lo
	v_mul_lo_u32 v0, v0, v1
	v_sub_nc_u32_e32 v1, 44, v5
.LBB0_19:
	s_or_b32 exec_lo, exec_lo, s9
	s_and_saveexec_b32 s5, s4
	s_cbranch_execz .LBB0_23
; %bb.20:
	v_sub_nc_u32_e32 v2, v7, v5
	s_mov_b32 s4, 0
.LBB0_21:                               ; =>This Inner Loop Header: Depth=1
	s_delay_alu instid0(VALU_DEP_1) | instskip(NEXT) | instid1(VALU_DEP_4)
	v_add_nc_u32_e32 v2, -1, v2
	v_mul_lo_u32 v0, v0, v1
	v_add_nc_u32_e32 v1, -1, v1
	s_delay_alu instid0(VALU_DEP_3) | instskip(SKIP_1) | instid1(SALU_CYCLE_1)
	v_cmp_eq_u32_e64 s2, 0, v2
	s_or_b32 s4, s2, s4
	s_and_not1_b32 exec_lo, exec_lo, s4
	s_cbranch_execnz .LBB0_21
; %bb.22:
	s_or_b32 exec_lo, exec_lo, s4
.LBB0_23:
	s_delay_alu instid0(SALU_CYCLE_1)
	s_or_b32 exec_lo, exec_lo, s5
.LBB0_24:
	s_delay_alu instid0(SALU_CYCLE_1)
	s_or_b32 exec_lo, exec_lo, s3
	s_and_saveexec_b32 s2, vcc_lo
	s_cbranch_execz .LBB0_28
; %bb.25:
	v_mov_b32_e32 v1, v7
	s_mov_b32 s3, 0
.LBB0_26:                               ; =>This Inner Loop Header: Depth=1
	s_delay_alu instid0(VALU_DEP_1) | instskip(NEXT) | instid1(VALU_DEP_1)
	v_dual_sub_nc_u32 v2, 0, v1 :: v_dual_sub_nc_u32 v8, 0, v0
	v_max_i32_e32 v2, v1, v2
	s_delay_alu instid0(VALU_DEP_1) | instskip(SKIP_1) | instid1(VALU_DEP_1)
	v_dual_sub_nc_u32 v5, 0, v2 :: v_dual_max_i32 v8, v0, v8
	v_cvt_f32_u32_e32 v3, v2
	v_rcp_iflag_f32_e32 v3, v3
	v_nop
	s_delay_alu instid0(TRANS32_DEP_1) | instskip(NEXT) | instid1(VALU_DEP_1)
	v_mul_f32_e32 v3, 0x4f7ffffe, v3
	v_cvt_u32_f32_e32 v3, v3
	s_delay_alu instid0(VALU_DEP_1) | instskip(NEXT) | instid1(VALU_DEP_1)
	v_mul_lo_u32 v5, v5, v3
	v_mul_hi_u32 v5, v3, v5
	s_delay_alu instid0(VALU_DEP_1) | instskip(NEXT) | instid1(VALU_DEP_1)
	v_add_nc_u32_e32 v3, v3, v5
	v_mul_hi_u32 v3, v8, v3
	s_delay_alu instid0(VALU_DEP_1) | instskip(NEXT) | instid1(VALU_DEP_1)
	v_mul_lo_u32 v5, v3, v2
	v_dual_sub_nc_u32 v5, v8, v5 :: v_dual_add_nc_u32 v9, 1, v3
	s_delay_alu instid0(VALU_DEP_1) | instskip(SKIP_1) | instid1(VALU_DEP_2)
	v_sub_nc_u32_e32 v8, v5, v2
	v_cmp_ge_u32_e32 vcc_lo, v5, v2
	v_dual_cndmask_b32 v3, v3, v9, vcc_lo :: v_dual_cndmask_b32 v5, v5, v8, vcc_lo
	v_dual_add_nc_u32 v1, -1, v1 :: v_dual_bitop2_b32 v0, v0, v1 bitop3:0x14
	s_delay_alu instid0(VALU_DEP_2) | instskip(NEXT) | instid1(VALU_DEP_3)
	v_add_nc_u32_e32 v8, 1, v3
	v_cmp_ge_u32_e32 vcc_lo, v5, v2
	s_delay_alu instid0(VALU_DEP_3) | instskip(NEXT) | instid1(VALU_DEP_3)
	v_ashrrev_i32_e32 v0, 31, v0
	v_cndmask_b32_e32 v2, v3, v8, vcc_lo
	v_cmp_eq_u32_e32 vcc_lo, 0, v1
	s_delay_alu instid0(VALU_DEP_2) | instskip(SKIP_1) | instid1(VALU_DEP_1)
	v_xor_b32_e32 v2, v2, v0
	s_or_b32 s3, vcc_lo, s3
	v_sub_nc_u32_e32 v0, v2, v0
	s_and_not1_b32 exec_lo, exec_lo, s3
	s_cbranch_execnz .LBB0_26
; %bb.27:
	s_or_b32 exec_lo, exec_lo, s3
.LBB0_28:
	s_delay_alu instid0(SALU_CYCLE_1) | instskip(SKIP_3) | instid1(VALU_DEP_3)
	s_or_b32 exec_lo, exec_lo, s2
	v_dual_mov_b32 v14, 0 :: v_dual_sub_nc_u32 v1, v13, v4
	v_dual_mov_b32 v12, 0 :: v_dual_mov_b32 v11, 0
	v_dual_mov_b32 v9, 0 :: v_dual_mov_b32 v8, 0
	v_dual_mov_b32 v10, 0 :: v_dual_add_nc_u32 v15, v0, v1
	v_mov_b32_e32 v16, 0
	s_mov_b32 s4, exec_lo
	v_cmpx_lt_i32_e32 2, v6
	s_cbranch_execz .LBB0_56
; %bb.29:
	v_dual_add_nc_u32 v8, -2, v6 :: v_dual_mov_b32 v0, 44
	v_dual_mov_b32 v16, 0 :: v_dual_mov_b32 v9, 0
	v_dual_mov_b32 v10, 0 :: v_dual_mov_b32 v11, 0
	;; [unrolled: 1-line block ×3, first 2 shown]
	s_delay_alu instid0(VALU_DEP_4)
	v_mov_b32_e32 v17, v8
	s_mov_b32 s5, 0
	s_mov_b32 s6, 0
.LBB0_30:                               ; =>This Loop Header: Depth=1
                                        ;     Child Loop BB0_32 Depth 2
                                        ;       Child Loop BB0_34 Depth 3
                                        ;       Child Loop BB0_38 Depth 3
	;; [unrolled: 1-line block ×3, first 2 shown]
                                        ;     Child Loop BB0_46 Depth 2
                                        ;     Child Loop BB0_50 Depth 2
	;; [unrolled: 1-line block ×3, first 2 shown]
	s_delay_alu instid0(SALU_CYCLE_1) | instskip(NEXT) | instid1(VALU_DEP_2)
	v_subrev_nc_u32_e32 v19, s6, v8
	v_dual_add_nc_u32 v7, -1, v7 :: v_dual_bitop2_b32 v21, -2, v17 bitop3:0x40
	v_dual_mov_b32 v4, 0 :: v_dual_mov_b32 v18, 0
	s_delay_alu instid0(VALU_DEP_3)
	v_and_b32_e32 v20, -2, v19
	s_mov_b32 s7, exec_lo
	v_cmpx_lt_i32_e32 0, v15
	s_cbranch_execz .LBB0_44
; %bb.31:                               ;   in Loop: Header=BB0_30 Depth=1
	v_dual_mov_b32 v18, 0 :: v_dual_bitop2_b32 v1, -2, v19 bitop3:0x40
	s_mov_b32 s10, 1
	s_mov_b32 s9, 0
	v_cmp_lt_u32_e32 vcc_lo, 1, v19
	s_delay_alu instid0(VALU_DEP_2)
	v_cmp_ne_u32_e64 s2, v19, v1
.LBB0_32:                               ;   Parent Loop BB0_30 Depth=1
                                        ; =>  This Loop Header: Depth=2
                                        ;       Child Loop BB0_34 Depth 3
                                        ;       Child Loop BB0_38 Depth 3
	;; [unrolled: 1-line block ×3, first 2 shown]
	v_subrev_nc_u32_e32 v2, s10, v0
	v_dual_mov_b32 v3, 1 :: v_dual_mov_b32 v4, 0
	s_mov_b32 s3, -1
	s_and_saveexec_b32 s11, vcc_lo
	s_cbranch_execz .LBB0_36
; %bb.33:                               ;   in Loop: Header=BB0_32 Depth=2
	v_dual_mov_b32 v22, 1 :: v_dual_add_nc_u32 v3, -1, v2
	v_mov_b32_e32 v23, v21
	s_mov_b32 s12, 0
	s_delay_alu instid0(VALU_DEP_2)
	v_mov_b64_e32 v[4:5], v[2:3]
	v_mov_b32_e32 v3, 1
.LBB0_34:                               ;   Parent Loop BB0_30 Depth=1
                                        ;     Parent Loop BB0_32 Depth=2
                                        ; =>    This Inner Loop Header: Depth=3
	s_delay_alu instid0(VALU_DEP_3) | instskip(NEXT) | instid1(VALU_DEP_2)
	v_add_nc_u32_e32 v23, -2, v23
	v_mul_lo_u32 v3, v3, v5
	s_delay_alu instid0(VALU_DEP_4) | instskip(SKIP_1) | instid1(VALU_DEP_4)
	v_mul_lo_u32 v22, v22, v4
	v_dual_add_nc_u32 v5, -2, v5 :: v_dual_add_nc_u32 v4, -2, v4
	v_cmp_eq_u32_e64 s3, 0, v23
	s_or_b32 s12, s3, s12
	s_delay_alu instid0(SALU_CYCLE_1)
	s_and_not1_b32 exec_lo, exec_lo, s12
	s_cbranch_execnz .LBB0_34
; %bb.35:                               ;   in Loop: Header=BB0_32 Depth=2
	s_or_b32 exec_lo, exec_lo, s12
	v_mul_lo_u32 v3, v22, v3
	v_dual_sub_nc_u32 v2, v2, v1 :: v_dual_mov_b32 v4, v1
	s_or_not1_b32 s3, s2, exec_lo
.LBB0_36:                               ;   in Loop: Header=BB0_32 Depth=2
	s_or_b32 exec_lo, exec_lo, s11
	s_and_saveexec_b32 s11, s3
	s_cbranch_execz .LBB0_40
; %bb.37:                               ;   in Loop: Header=BB0_32 Depth=2
	s_mov_b32 s12, 0
.LBB0_38:                               ;   Parent Loop BB0_30 Depth=1
                                        ;     Parent Loop BB0_32 Depth=2
                                        ; =>    This Inner Loop Header: Depth=3
	v_add_nc_u32_e32 v4, 1, v4
	s_delay_alu instid0(VALU_DEP_2) | instskip(SKIP_1) | instid1(VALU_DEP_3)
	v_mul_lo_u32 v3, v3, v2
	v_add_nc_u32_e32 v2, -1, v2
	v_cmp_eq_u32_e64 s3, v17, v4
	s_or_b32 s12, s3, s12
	s_delay_alu instid0(SALU_CYCLE_1)
	s_and_not1_b32 exec_lo, exec_lo, s12
	s_cbranch_execnz .LBB0_38
; %bb.39:                               ;   in Loop: Header=BB0_32 Depth=2
	s_or_b32 exec_lo, exec_lo, s12
.LBB0_40:                               ;   in Loop: Header=BB0_32 Depth=2
	s_delay_alu instid0(SALU_CYCLE_1)
	s_or_b32 exec_lo, exec_lo, s11
	v_mov_b32_e32 v2, v7
	s_mov_b32 s11, 0
.LBB0_41:                               ;   Parent Loop BB0_30 Depth=1
                                        ;     Parent Loop BB0_32 Depth=2
                                        ; =>    This Inner Loop Header: Depth=3
	s_delay_alu instid0(VALU_DEP_1) | instskip(NEXT) | instid1(VALU_DEP_1)
	v_dual_sub_nc_u32 v4, 0, v2 :: v_dual_sub_nc_u32 v23, 0, v3
	v_max_i32_e32 v4, v2, v4
	s_delay_alu instid0(VALU_DEP_2) | instskip(SKIP_1) | instid1(VALU_DEP_3)
	v_max_i32_e32 v23, v3, v23
	v_dual_add_nc_u32 v2, -1, v2 :: v_dual_bitop2_b32 v3, v3, v2 bitop3:0x14
	v_cvt_f32_u32_e32 v5, v4
	s_delay_alu instid0(VALU_DEP_2) | instskip(NEXT) | instid1(VALU_DEP_2)
	v_dual_sub_nc_u32 v22, 0, v4 :: v_dual_ashrrev_i32 v3, 31, v3
	v_rcp_iflag_f32_e32 v5, v5
	v_nop
	s_delay_alu instid0(TRANS32_DEP_1) | instskip(NEXT) | instid1(VALU_DEP_1)
	v_mul_f32_e32 v5, 0x4f7ffffe, v5
	v_cvt_u32_f32_e32 v5, v5
	s_delay_alu instid0(VALU_DEP_1) | instskip(NEXT) | instid1(VALU_DEP_1)
	v_mul_lo_u32 v22, v22, v5
	v_mul_hi_u32 v22, v5, v22
	s_delay_alu instid0(VALU_DEP_1) | instskip(NEXT) | instid1(VALU_DEP_1)
	v_add_nc_u32_e32 v5, v5, v22
	v_mul_hi_u32 v5, v23, v5
	s_delay_alu instid0(VALU_DEP_1) | instskip(NEXT) | instid1(VALU_DEP_1)
	v_mul_lo_u32 v22, v5, v4
	v_dual_sub_nc_u32 v22, v23, v22 :: v_dual_add_nc_u32 v24, 1, v5
	s_delay_alu instid0(VALU_DEP_1) | instskip(SKIP_1) | instid1(VALU_DEP_1)
	v_sub_nc_u32_e32 v23, v22, v4
	v_cmp_ge_u32_e64 s3, v22, v4
	v_dual_cndmask_b32 v5, v5, v24, s3 :: v_dual_cndmask_b32 v22, v22, v23, s3
	s_delay_alu instid0(VALU_DEP_1) | instskip(NEXT) | instid1(VALU_DEP_2)
	v_add_nc_u32_e32 v23, 1, v5
	v_cmp_ge_u32_e64 s3, v22, v4
	s_delay_alu instid0(VALU_DEP_1) | instskip(SKIP_1) | instid1(VALU_DEP_2)
	v_cndmask_b32_e64 v4, v5, v23, s3
	v_cmp_eq_u32_e64 s3, 0, v2
	v_xor_b32_e32 v4, v4, v3
	s_or_b32 s11, s3, s11
	s_delay_alu instid0(VALU_DEP_1)
	v_sub_nc_u32_e32 v3, v4, v3
	s_and_not1_b32 exec_lo, exec_lo, s11
	s_cbranch_execnz .LBB0_41
; %bb.42:                               ;   in Loop: Header=BB0_32 Depth=2
	s_or_b32 exec_lo, exec_lo, s11
	s_delay_alu instid0(VALU_DEP_1) | instskip(SKIP_1) | instid1(VALU_DEP_1)
	v_dual_add_nc_u32 v18, v3, v18 :: v_dual_mov_b32 v4, s10
	s_add_co_i32 s10, s10, 1
	v_cmp_ge_i32_e64 s3, v18, v15
	s_or_b32 s9, s3, s9
	s_delay_alu instid0(SALU_CYCLE_1)
	s_and_not1_b32 exec_lo, exec_lo, s9
	s_cbranch_execnz .LBB0_32
; %bb.43:                               ;   in Loop: Header=BB0_30 Depth=1
	s_or_b32 exec_lo, exec_lo, s9
.LBB0_44:                               ;   in Loop: Header=BB0_30 Depth=1
	s_delay_alu instid0(SALU_CYCLE_1) | instskip(SKIP_4) | instid1(VALU_DEP_2)
	s_or_b32 exec_lo, exec_lo, s7
	v_dual_mov_b32 v1, 1 :: v_dual_sub_nc_u32 v0, v0, v4
	v_mov_b32_e32 v2, 0
	s_mov_b32 s3, -1
	s_mov_b32 s2, exec_lo
	v_mov_b32_e32 v3, v0
	v_cmpx_lt_u32_e32 1, v19
	s_cbranch_execz .LBB0_48
; %bb.45:                               ;   in Loop: Header=BB0_30 Depth=1
	v_dual_add_nc_u32 v1, -1, v0 :: v_dual_mov_b32 v5, 1
	s_mov_b32 s3, 0
	s_delay_alu instid0(VALU_DEP_1)
	v_mov_b64_e32 v[2:3], v[0:1]
	v_mov_b32_e32 v1, 1
.LBB0_46:                               ;   Parent Loop BB0_30 Depth=1
                                        ; =>  This Inner Loop Header: Depth=2
	v_add_nc_u32_e32 v21, -2, v21
	s_delay_alu instid0(VALU_DEP_2) | instskip(NEXT) | instid1(VALU_DEP_4)
	v_mul_lo_u32 v1, v1, v3
	v_mul_lo_u32 v5, v5, v2
	v_dual_add_nc_u32 v3, -2, v3 :: v_dual_add_nc_u32 v2, -2, v2
	s_delay_alu instid0(VALU_DEP_4) | instskip(SKIP_1) | instid1(SALU_CYCLE_1)
	v_cmp_eq_u32_e32 vcc_lo, 0, v21
	s_or_b32 s3, vcc_lo, s3
	s_and_not1_b32 exec_lo, exec_lo, s3
	s_cbranch_execnz .LBB0_46
; %bb.47:                               ;   in Loop: Header=BB0_30 Depth=1
	s_or_b32 exec_lo, exec_lo, s3
	s_delay_alu instid0(VALU_DEP_3)
	v_mul_lo_u32 v1, v5, v1
	v_cmp_ne_u32_e32 vcc_lo, v19, v20
	v_sub_nc_u32_e32 v3, v0, v20
	v_mov_b32_e32 v2, v20
	s_or_not1_b32 s3, vcc_lo, exec_lo
.LBB0_48:                               ;   in Loop: Header=BB0_30 Depth=1
	s_or_b32 exec_lo, exec_lo, s2
	s_and_saveexec_b32 s2, s3
	s_cbranch_execz .LBB0_52
; %bb.49:                               ;   in Loop: Header=BB0_30 Depth=1
	s_mov_b32 s3, 0
.LBB0_50:                               ;   Parent Loop BB0_30 Depth=1
                                        ; =>  This Inner Loop Header: Depth=2
	v_add_nc_u32_e32 v2, 1, v2
	s_delay_alu instid0(VALU_DEP_4) | instskip(SKIP_1) | instid1(VALU_DEP_3)
	v_mul_lo_u32 v1, v1, v3
	v_add_nc_u32_e32 v3, -1, v3
	v_cmp_eq_u32_e32 vcc_lo, v17, v2
	s_or_b32 s3, vcc_lo, s3
	s_delay_alu instid0(SALU_CYCLE_1)
	s_and_not1_b32 exec_lo, exec_lo, s3
	s_cbranch_execnz .LBB0_50
; %bb.51:                               ;   in Loop: Header=BB0_30 Depth=1
	s_or_b32 exec_lo, exec_lo, s3
.LBB0_52:                               ;   in Loop: Header=BB0_30 Depth=1
	s_delay_alu instid0(SALU_CYCLE_1)
	s_or_b32 exec_lo, exec_lo, s2
	v_mov_b32_e32 v2, v7
	s_mov_b32 s2, 0
.LBB0_53:                               ;   Parent Loop BB0_30 Depth=1
                                        ; =>  This Inner Loop Header: Depth=2
	s_delay_alu instid0(VALU_DEP_1) | instskip(NEXT) | instid1(VALU_DEP_1)
	v_dual_sub_nc_u32 v3, 0, v2 :: v_dual_sub_nc_u32 v20, 0, v1
	v_max_i32_e32 v3, v2, v3
	s_delay_alu instid0(VALU_DEP_2) | instskip(SKIP_1) | instid1(VALU_DEP_3)
	v_max_i32_e32 v20, v1, v20
	v_xor_b32_e32 v1, v1, v2
	v_cvt_f32_u32_e32 v5, v3
	v_sub_nc_u32_e32 v19, 0, v3
	s_delay_alu instid0(VALU_DEP_2) | instskip(SKIP_1) | instid1(TRANS32_DEP_1)
	v_rcp_iflag_f32_e32 v5, v5
	v_nop
	v_mul_f32_e32 v5, 0x4f7ffffe, v5
	s_delay_alu instid0(VALU_DEP_1) | instskip(NEXT) | instid1(VALU_DEP_1)
	v_cvt_u32_f32_e32 v5, v5
	v_mul_lo_u32 v19, v19, v5
	s_delay_alu instid0(VALU_DEP_1) | instskip(NEXT) | instid1(VALU_DEP_1)
	v_mul_hi_u32 v19, v5, v19
	v_add_nc_u32_e32 v5, v5, v19
	s_delay_alu instid0(VALU_DEP_1) | instskip(NEXT) | instid1(VALU_DEP_1)
	v_mul_hi_u32 v5, v20, v5
	v_add_nc_u32_e32 v21, 1, v5
	v_mul_lo_u32 v19, v5, v3
	s_delay_alu instid0(VALU_DEP_1) | instskip(NEXT) | instid1(VALU_DEP_1)
	v_sub_nc_u32_e32 v19, v20, v19
	v_sub_nc_u32_e32 v20, v19, v3
	v_cmp_ge_u32_e32 vcc_lo, v19, v3
	s_delay_alu instid0(VALU_DEP_2) | instskip(NEXT) | instid1(VALU_DEP_1)
	v_dual_cndmask_b32 v5, v5, v21, vcc_lo :: v_dual_cndmask_b32 v19, v19, v20, vcc_lo
	v_add_nc_u32_e32 v20, 1, v5
	s_delay_alu instid0(VALU_DEP_2) | instskip(NEXT) | instid1(VALU_DEP_2)
	v_cmp_ge_u32_e32 vcc_lo, v19, v3
	v_dual_ashrrev_i32 v1, 31, v1 :: v_dual_cndmask_b32 v3, v5, v20, vcc_lo
	s_delay_alu instid0(VALU_DEP_1) | instskip(NEXT) | instid1(VALU_DEP_1)
	v_dual_add_nc_u32 v2, -1, v2 :: v_dual_bitop2_b32 v3, v3, v1 bitop3:0x14
	v_cmp_eq_u32_e32 vcc_lo, 0, v2
	s_delay_alu instid0(VALU_DEP_2) | instskip(SKIP_1) | instid1(SALU_CYCLE_1)
	v_sub_nc_u32_e32 v1, v3, v1
	s_or_b32 s2, vcc_lo, s2
	s_and_not1_b32 exec_lo, exec_lo, s2
	s_cbranch_execnz .LBB0_53
; %bb.54:                               ;   in Loop: Header=BB0_30 Depth=1
	s_or_b32 exec_lo, exec_lo, s2
	v_dual_sub_nc_u32 v2, v15, v18 :: v_dual_add_nc_u32 v16, v4, v16
	s_add_co_i32 s3, s6, 1
	s_cmp_eq_u32 s6, 0
	v_add_nc_u32_e32 v17, -1, v17
	s_cselect_b32 vcc_lo, -1, 0
	s_cmp_eq_u32 s6, 1
	v_cndmask_b32_e32 v9, v9, v16, vcc_lo
	s_cselect_b32 vcc_lo, -1, 0
	s_cmp_eq_u32 s6, 2
	v_dual_cndmask_b32 v10, v10, v16 :: v_dual_add_nc_u32 v15, v1, v2
	s_cselect_b32 vcc_lo, -1, 0
	s_cmp_eq_u32 s6, 3
	v_cndmask_b32_e32 v11, v11, v16, vcc_lo
	s_cselect_b32 vcc_lo, -1, 0
	s_cmp_eq_u32 s6, 4
	s_mov_b32 s6, s3
	s_cselect_b32 s2, -1, 0
	s_delay_alu instid0(SALU_CYCLE_1) | instskip(SKIP_2) | instid1(SALU_CYCLE_1)
	v_dual_cndmask_b32 v12, v12, v16, vcc_lo :: v_dual_cndmask_b32 v14, v14, v16, s2
	v_cmp_eq_u32_e32 vcc_lo, s3, v8
	s_or_b32 s5, vcc_lo, s5
	s_and_not1_b32 exec_lo, exec_lo, s5
	s_cbranch_execnz .LBB0_30
; %bb.55:
	s_or_b32 exec_lo, exec_lo, s5
.LBB0_56:
	s_delay_alu instid0(SALU_CYCLE_1) | instskip(SKIP_4) | instid1(VALU_DEP_2)
	s_or_b32 exec_lo, exec_lo, s4
	v_add_nc_u32_e32 v0, v16, v15
	v_cmp_eq_u32_e32 vcc_lo, 4, v8
	s_mov_b32 s5, 0
	s_mov_b32 s4, exec_lo
	v_cndmask_b32_e32 v4, v14, v0, vcc_lo
	v_cmp_eq_u32_e32 vcc_lo, 3, v8
	v_cndmask_b32_e32 v3, v12, v0, vcc_lo
	v_cmp_eq_u32_e32 vcc_lo, 2, v8
	;; [unrolled: 2-line block ×4, first 2 shown]
	v_cndmask_b32_e32 v0, v9, v0, vcc_lo
	v_cmpx_gt_u32_e32 3, v8
	s_cbranch_execz .LBB0_60
; %bb.57:
	v_dual_mov_b32 v7, 0 :: v_dual_max_i32 v6, 2, v6
	s_delay_alu instid0(VALU_DEP_1)
	v_dual_add_nc_u32 v5, -3, v6 :: v_dual_add_nc_u32 v6, -1, v6
.LBB0_58:                               ; =>This Inner Loop Header: Depth=1
	s_delay_alu instid0(VALU_DEP_1) | instskip(SKIP_3) | instid1(VALU_DEP_3)
	v_cmp_ne_u32_e32 vcc_lo, 4, v6
	v_cmp_ne_u32_e64 s2, 0, v6
	v_cndmask_b32_e32 v4, -1, v4, vcc_lo
	v_cmp_ne_u32_e32 vcc_lo, 3, v6
	v_dual_cndmask_b32 v0, -1, v0, s2 :: v_dual_cndmask_b32 v3, -1, v3, vcc_lo
	v_cmp_ne_u32_e32 vcc_lo, 2, v6
	v_dual_cndmask_b32 v2, -1, v2 :: v_dual_add_nc_u32 v5, 1, v5
	v_cmp_ne_u32_e32 vcc_lo, 1, v6
	s_delay_alu instid0(VALU_DEP_2) | instskip(SKIP_3) | instid1(SALU_CYCLE_1)
	v_cmp_lt_u32_e64 s3, 1, v5
	v_add_nc_u64_e32 v[6:7], 1, v[6:7]
	v_cndmask_b32_e32 v1, -1, v1, vcc_lo
	s_or_b32 s5, s3, s5
	s_and_not1_b32 exec_lo, exec_lo, s5
	s_cbranch_execnz .LBB0_58
; %bb.59:
	s_or_b32 exec_lo, exec_lo, s5
.LBB0_60:
	s_delay_alu instid0(SALU_CYCLE_1)
	s_or_b32 exec_lo, exec_lo, s4
.LBB0_61:
	s_delay_alu instid0(SALU_CYCLE_1)
	s_or_b32 exec_lo, exec_lo, s8
	v_cmp_lt_i32_e32 vcc_lo, 0, v2
	v_cmp_lt_i32_e64 s2, 0, v0
	s_clause 0x1
	s_load_b128 s[8:11], s[0:1], 0x8
	s_load_b64 s[6:7], s[0:1], 0x18
	v_dual_mov_b32 v20, 7 :: v_dual_mov_b32 v21, 8
	v_cndmask_b32_e64 v5, 0, 1, vcc_lo
	v_cmp_lt_i32_e32 vcc_lo, 0, v1
	v_cndmask_b32_e64 v6, 0, 1, s2
	v_dual_mov_b32 v22, 9 :: v_dual_mov_b32 v23, 10
	v_dual_mov_b32 v24, 11 :: v_dual_mov_b32 v25, 12
	v_add_co_ci_u32_e64 v7, null, 0, v5, vcc_lo
	v_cmp_lt_i32_e32 vcc_lo, 0, v3
	v_dual_mov_b32 v19, 6 :: v_dual_mov_b32 v26, 13
	v_dual_mov_b32 v27, 14 :: v_dual_mov_b32 v28, 15
	v_mov_b32_e32 v29, 16
	v_add_co_ci_u32_e64 v5, null, v7, v6, vcc_lo
	v_mov_b32_e32 v6, 0
	v_cndmask_b32_e64 v8, 0, 1, vcc_lo
	v_dual_mov_b32 v30, 17 :: v_dual_mov_b32 v31, 18
	v_dual_mov_b32 v32, 19 :: v_dual_mov_b32 v33, 20
	s_delay_alu instid0(VALU_DEP_4) | instskip(NEXT) | instid1(VALU_DEP_4)
	v_dual_mov_b32 v9, v6 :: v_dual_mov_b32 v10, v6
	v_add_co_ci_u32_e64 v18, null, v7, v8, s2
	v_dual_mov_b32 v7, v6 :: v_dual_mov_b32 v8, v6
	s_delay_alu instid0(VALU_DEP_3)
	v_dual_mov_b32 v58, 2 :: v_dual_mov_b32 v12, v10
	v_dual_mov_b32 v34, 21 :: v_dual_mov_b32 v35, 22
	;; [unrolled: 1-line block ×14, first 2 shown]
	v_mov_b32_e32 v9, v7
	v_mov_b32_e32 v8, v6
	s_or_b32 s17, 0, 8
	s_or_b32 s18, 0, 4
	s_mov_b32 s19, 0
	v_cmp_ne_u32_e32 vcc_lo, 0, v5
	s_branch .LBB0_63
.LBB0_62:                               ;   in Loop: Header=BB0_63 Depth=1
	s_or_b32 exec_lo, exec_lo, s20
	s_add_co_i32 s19, s19, 1
	s_delay_alu instid0(SALU_CYCLE_1)
	s_cmp_lg_u32 s19, 45
	s_cbranch_scc0 .LBB0_215
.LBB0_63:                               ; =>This Loop Header: Depth=1
                                        ;     Child Loop BB0_155 Depth 2
                                        ;     Child Loop BB0_160 Depth 2
                                        ;       Child Loop BB0_162 Depth 3
                                        ;       Child Loop BB0_176 Depth 3
	;; [unrolled: 1-line block ×3, first 2 shown]
                                        ;         Child Loop BB0_199 Depth 4
                                        ;         Child Loop BB0_205 Depth 4
	;; [unrolled: 1-line block ×3, first 2 shown]
	s_cmp_eq_u32 s19, 0
	s_wait_xcnt 0x0
	s_mov_b32 s1, s18
	s_mov_b32 s0, 1
	s_cbranch_scc1 .LBB0_65
; %bb.64:                               ;   in Loop: Header=BB0_63 Depth=1
	s_mov_b32 s0, 2
	s_mov_b32 s1, s17
	scratch_store_b32 off, v6, off offset:4
.LBB0_65:                               ;   in Loop: Header=BB0_63 Depth=1
	s_cmp_eq_u32 s19, 1
	s_cbranch_scc0 .LBB0_110
; %bb.66:                               ;   in Loop: Header=BB0_63 Depth=1
	s_cmp_eq_u32 s19, 2
	s_cbranch_scc0 .LBB0_111
.LBB0_67:                               ;   in Loop: Header=BB0_63 Depth=1
	s_cmp_eq_u32 s19, 3
	s_cbranch_scc0 .LBB0_112
.LBB0_68:                               ;   in Loop: Header=BB0_63 Depth=1
	s_cmp_eq_u32 s19, 4
	s_cbranch_scc0 .LBB0_113
.LBB0_69:                               ;   in Loop: Header=BB0_63 Depth=1
	s_cmp_eq_u32 s19, 5
	s_cbranch_scc0 .LBB0_114
.LBB0_70:                               ;   in Loop: Header=BB0_63 Depth=1
	s_cmp_eq_u32 s19, 6
	s_cbranch_scc0 .LBB0_115
.LBB0_71:                               ;   in Loop: Header=BB0_63 Depth=1
	s_cmp_eq_u32 s19, 7
	s_cbranch_scc0 .LBB0_116
.LBB0_72:                               ;   in Loop: Header=BB0_63 Depth=1
	s_cmp_eq_u32 s19, 8
	s_cbranch_scc0 .LBB0_117
.LBB0_73:                               ;   in Loop: Header=BB0_63 Depth=1
	s_cmp_eq_u32 s19, 9
	s_cbranch_scc0 .LBB0_118
.LBB0_74:                               ;   in Loop: Header=BB0_63 Depth=1
	s_cmp_eq_u32 s19, 10
	s_cbranch_scc0 .LBB0_119
.LBB0_75:                               ;   in Loop: Header=BB0_63 Depth=1
	s_cmp_eq_u32 s19, 11
	s_cbranch_scc0 .LBB0_120
.LBB0_76:                               ;   in Loop: Header=BB0_63 Depth=1
	s_cmp_eq_u32 s19, 12
	s_cbranch_scc0 .LBB0_121
.LBB0_77:                               ;   in Loop: Header=BB0_63 Depth=1
	s_cmp_eq_u32 s19, 13
	s_cbranch_scc0 .LBB0_122
.LBB0_78:                               ;   in Loop: Header=BB0_63 Depth=1
	s_cmp_eq_u32 s19, 14
	s_cbranch_scc0 .LBB0_123
.LBB0_79:                               ;   in Loop: Header=BB0_63 Depth=1
	s_cmp_eq_u32 s19, 15
	s_cbranch_scc0 .LBB0_124
.LBB0_80:                               ;   in Loop: Header=BB0_63 Depth=1
	s_cmp_eq_u32 s19, 16
	s_cbranch_scc0 .LBB0_125
.LBB0_81:                               ;   in Loop: Header=BB0_63 Depth=1
	s_cmp_eq_u32 s19, 17
	s_cbranch_scc0 .LBB0_126
.LBB0_82:                               ;   in Loop: Header=BB0_63 Depth=1
	s_cmp_eq_u32 s19, 18
	s_cbranch_scc0 .LBB0_127
.LBB0_83:                               ;   in Loop: Header=BB0_63 Depth=1
	s_cmp_eq_u32 s19, 19
	s_cbranch_scc0 .LBB0_128
.LBB0_84:                               ;   in Loop: Header=BB0_63 Depth=1
	s_cmp_eq_u32 s19, 20
	s_cbranch_scc0 .LBB0_129
.LBB0_85:                               ;   in Loop: Header=BB0_63 Depth=1
	s_cmp_eq_u32 s19, 21
	s_cbranch_scc0 .LBB0_130
.LBB0_86:                               ;   in Loop: Header=BB0_63 Depth=1
	s_cmp_eq_u32 s19, 22
	s_cbranch_scc0 .LBB0_131
.LBB0_87:                               ;   in Loop: Header=BB0_63 Depth=1
	s_cmp_eq_u32 s19, 23
	s_cbranch_scc0 .LBB0_132
.LBB0_88:                               ;   in Loop: Header=BB0_63 Depth=1
	s_cmp_eq_u32 s19, 24
	s_cbranch_scc0 .LBB0_133
.LBB0_89:                               ;   in Loop: Header=BB0_63 Depth=1
	s_cmp_eq_u32 s19, 25
	s_cbranch_scc0 .LBB0_134
.LBB0_90:                               ;   in Loop: Header=BB0_63 Depth=1
	s_cmp_eq_u32 s19, 26
	s_cbranch_scc0 .LBB0_135
.LBB0_91:                               ;   in Loop: Header=BB0_63 Depth=1
	s_cmp_eq_u32 s19, 27
	s_cbranch_scc0 .LBB0_136
.LBB0_92:                               ;   in Loop: Header=BB0_63 Depth=1
	s_cmp_eq_u32 s19, 28
	s_cbranch_scc0 .LBB0_137
.LBB0_93:                               ;   in Loop: Header=BB0_63 Depth=1
	s_cmp_eq_u32 s19, 29
	s_cbranch_scc0 .LBB0_138
.LBB0_94:                               ;   in Loop: Header=BB0_63 Depth=1
	s_cmp_eq_u32 s19, 30
	s_cbranch_scc0 .LBB0_139
.LBB0_95:                               ;   in Loop: Header=BB0_63 Depth=1
	s_cmp_eq_u32 s19, 31
	s_cbranch_scc0 .LBB0_140
.LBB0_96:                               ;   in Loop: Header=BB0_63 Depth=1
	s_cmp_eq_u32 s19, 32
	s_cbranch_scc0 .LBB0_141
.LBB0_97:                               ;   in Loop: Header=BB0_63 Depth=1
	s_cmp_eq_u32 s19, 33
	s_cbranch_scc0 .LBB0_142
.LBB0_98:                               ;   in Loop: Header=BB0_63 Depth=1
	s_cmp_eq_u32 s19, 34
	s_cbranch_scc0 .LBB0_143
.LBB0_99:                               ;   in Loop: Header=BB0_63 Depth=1
	s_cmp_eq_u32 s19, 35
	s_cbranch_scc0 .LBB0_144
.LBB0_100:                              ;   in Loop: Header=BB0_63 Depth=1
	s_cmp_eq_u32 s19, 36
	s_cbranch_scc0 .LBB0_145
.LBB0_101:                              ;   in Loop: Header=BB0_63 Depth=1
	s_cmp_eq_u32 s19, 37
	s_cbranch_scc0 .LBB0_146
.LBB0_102:                              ;   in Loop: Header=BB0_63 Depth=1
	s_cmp_eq_u32 s19, 38
	s_cbranch_scc0 .LBB0_147
.LBB0_103:                              ;   in Loop: Header=BB0_63 Depth=1
	s_cmp_eq_u32 s19, 39
	s_cbranch_scc0 .LBB0_148
.LBB0_104:                              ;   in Loop: Header=BB0_63 Depth=1
	s_cmp_eq_u32 s19, 40
	s_cbranch_scc0 .LBB0_149
.LBB0_105:                              ;   in Loop: Header=BB0_63 Depth=1
	s_cmp_eq_u32 s19, 41
	s_cbranch_scc0 .LBB0_150
.LBB0_106:                              ;   in Loop: Header=BB0_63 Depth=1
	s_cmp_eq_u32 s19, 42
	s_cbranch_scc0 .LBB0_151
.LBB0_107:                              ;   in Loop: Header=BB0_63 Depth=1
	s_cmp_eq_u32 s19, 43
	s_cbranch_scc0 .LBB0_152
.LBB0_108:                              ;   in Loop: Header=BB0_63 Depth=1
	s_cmp_eq_u32 s19, 44
	s_cbranch_scc0 .LBB0_153
.LBB0_109:                              ;   in Loop: Header=BB0_63 Depth=1
	s_wait_xcnt 0x0
	s_and_saveexec_b32 s4, vcc_lo
	s_cbranch_execnz .LBB0_154
	s_branch .LBB0_157
.LBB0_110:                              ;   in Loop: Header=BB0_63 Depth=1
	v_mov_b32_e32 v7, 1
	s_add_co_i32 s0, s0, 1
	scratch_store_b32 off, v7, s1
	s_cmp_eq_u32 s19, 2
	s_cbranch_scc1 .LBB0_67
.LBB0_111:                              ;   in Loop: Header=BB0_63 Depth=1
	s_wait_xcnt 0x0
	s_lshl_b32 s1, s0, 2
	s_add_co_i32 s0, s0, 1
	scratch_store_b32 off, v58, s1
	s_cmp_eq_u32 s19, 3
	s_cbranch_scc1 .LBB0_68
.LBB0_112:                              ;   in Loop: Header=BB0_63 Depth=1
	s_wait_xcnt 0x0
	v_mov_b32_e32 v7, 3
	s_lshl_b32 s1, s0, 2
	s_add_co_i32 s0, s0, 1
	scratch_store_b32 off, v7, s1
	s_cmp_eq_u32 s19, 4
	s_cbranch_scc1 .LBB0_69
.LBB0_113:                              ;   in Loop: Header=BB0_63 Depth=1
	s_wait_xcnt 0x0
	v_mov_b32_e32 v7, 4
	s_lshl_b32 s1, s0, 2
	s_add_co_i32 s0, s0, 1
	scratch_store_b32 off, v7, s1
	s_cmp_eq_u32 s19, 5
	s_cbranch_scc1 .LBB0_70
.LBB0_114:                              ;   in Loop: Header=BB0_63 Depth=1
	s_wait_xcnt 0x0
	v_mov_b32_e32 v7, 5
	s_lshl_b32 s1, s0, 2
	s_add_co_i32 s0, s0, 1
	scratch_store_b32 off, v7, s1
	s_cmp_eq_u32 s19, 6
	s_cbranch_scc1 .LBB0_71
.LBB0_115:                              ;   in Loop: Header=BB0_63 Depth=1
	s_wait_xcnt 0x0
	s_lshl_b32 s1, s0, 2
	s_add_co_i32 s0, s0, 1
	scratch_store_b32 off, v19, s1
	s_cmp_eq_u32 s19, 7
	s_cbranch_scc1 .LBB0_72
.LBB0_116:                              ;   in Loop: Header=BB0_63 Depth=1
	s_wait_xcnt 0x0
	s_lshl_b32 s1, s0, 2
	s_add_co_i32 s0, s0, 1
	scratch_store_b32 off, v20, s1
	s_cmp_eq_u32 s19, 8
	s_cbranch_scc1 .LBB0_73
.LBB0_117:                              ;   in Loop: Header=BB0_63 Depth=1
	s_wait_xcnt 0x0
	s_lshl_b32 s1, s0, 2
	s_add_co_i32 s0, s0, 1
	scratch_store_b32 off, v21, s1
	s_cmp_eq_u32 s19, 9
	s_cbranch_scc1 .LBB0_74
.LBB0_118:                              ;   in Loop: Header=BB0_63 Depth=1
	s_wait_xcnt 0x0
	s_lshl_b32 s1, s0, 2
	s_add_co_i32 s0, s0, 1
	scratch_store_b32 off, v22, s1
	s_cmp_eq_u32 s19, 10
	s_cbranch_scc1 .LBB0_75
.LBB0_119:                              ;   in Loop: Header=BB0_63 Depth=1
	s_wait_xcnt 0x0
	s_lshl_b32 s1, s0, 2
	s_add_co_i32 s0, s0, 1
	scratch_store_b32 off, v23, s1
	s_cmp_eq_u32 s19, 11
	s_cbranch_scc1 .LBB0_76
.LBB0_120:                              ;   in Loop: Header=BB0_63 Depth=1
	s_wait_xcnt 0x0
	s_lshl_b32 s1, s0, 2
	s_add_co_i32 s0, s0, 1
	scratch_store_b32 off, v24, s1
	s_cmp_eq_u32 s19, 12
	s_cbranch_scc1 .LBB0_77
.LBB0_121:                              ;   in Loop: Header=BB0_63 Depth=1
	s_wait_xcnt 0x0
	s_lshl_b32 s1, s0, 2
	s_add_co_i32 s0, s0, 1
	scratch_store_b32 off, v25, s1
	s_cmp_eq_u32 s19, 13
	s_cbranch_scc1 .LBB0_78
.LBB0_122:                              ;   in Loop: Header=BB0_63 Depth=1
	s_wait_xcnt 0x0
	s_lshl_b32 s1, s0, 2
	s_add_co_i32 s0, s0, 1
	scratch_store_b32 off, v26, s1
	s_cmp_eq_u32 s19, 14
	s_cbranch_scc1 .LBB0_79
.LBB0_123:                              ;   in Loop: Header=BB0_63 Depth=1
	s_wait_xcnt 0x0
	s_lshl_b32 s1, s0, 2
	s_add_co_i32 s0, s0, 1
	scratch_store_b32 off, v27, s1
	s_cmp_eq_u32 s19, 15
	s_cbranch_scc1 .LBB0_80
.LBB0_124:                              ;   in Loop: Header=BB0_63 Depth=1
	s_wait_xcnt 0x0
	s_lshl_b32 s1, s0, 2
	s_add_co_i32 s0, s0, 1
	scratch_store_b32 off, v28, s1
	s_cmp_eq_u32 s19, 16
	s_cbranch_scc1 .LBB0_81
.LBB0_125:                              ;   in Loop: Header=BB0_63 Depth=1
	s_wait_xcnt 0x0
	s_lshl_b32 s1, s0, 2
	s_add_co_i32 s0, s0, 1
	scratch_store_b32 off, v29, s1
	s_cmp_eq_u32 s19, 17
	s_cbranch_scc1 .LBB0_82
.LBB0_126:                              ;   in Loop: Header=BB0_63 Depth=1
	s_wait_xcnt 0x0
	s_lshl_b32 s1, s0, 2
	s_add_co_i32 s0, s0, 1
	scratch_store_b32 off, v30, s1
	s_cmp_eq_u32 s19, 18
	s_cbranch_scc1 .LBB0_83
.LBB0_127:                              ;   in Loop: Header=BB0_63 Depth=1
	s_wait_xcnt 0x0
	s_lshl_b32 s1, s0, 2
	s_add_co_i32 s0, s0, 1
	scratch_store_b32 off, v31, s1
	s_cmp_eq_u32 s19, 19
	s_cbranch_scc1 .LBB0_84
.LBB0_128:                              ;   in Loop: Header=BB0_63 Depth=1
	s_wait_xcnt 0x0
	s_lshl_b32 s1, s0, 2
	s_add_co_i32 s0, s0, 1
	scratch_store_b32 off, v32, s1
	s_cmp_eq_u32 s19, 20
	s_cbranch_scc1 .LBB0_85
.LBB0_129:                              ;   in Loop: Header=BB0_63 Depth=1
	s_wait_xcnt 0x0
	s_lshl_b32 s1, s0, 2
	s_add_co_i32 s0, s0, 1
	scratch_store_b32 off, v33, s1
	s_cmp_eq_u32 s19, 21
	s_cbranch_scc1 .LBB0_86
.LBB0_130:                              ;   in Loop: Header=BB0_63 Depth=1
	s_wait_xcnt 0x0
	s_lshl_b32 s1, s0, 2
	s_add_co_i32 s0, s0, 1
	scratch_store_b32 off, v34, s1
	s_cmp_eq_u32 s19, 22
	s_cbranch_scc1 .LBB0_87
.LBB0_131:                              ;   in Loop: Header=BB0_63 Depth=1
	s_wait_xcnt 0x0
	s_lshl_b32 s1, s0, 2
	s_add_co_i32 s0, s0, 1
	scratch_store_b32 off, v35, s1
	s_cmp_eq_u32 s19, 23
	s_cbranch_scc1 .LBB0_88
.LBB0_132:                              ;   in Loop: Header=BB0_63 Depth=1
	s_wait_xcnt 0x0
	s_lshl_b32 s1, s0, 2
	s_add_co_i32 s0, s0, 1
	scratch_store_b32 off, v36, s1
	s_cmp_eq_u32 s19, 24
	s_cbranch_scc1 .LBB0_89
.LBB0_133:                              ;   in Loop: Header=BB0_63 Depth=1
	s_wait_xcnt 0x0
	s_lshl_b32 s1, s0, 2
	s_add_co_i32 s0, s0, 1
	scratch_store_b32 off, v37, s1
	s_cmp_eq_u32 s19, 25
	s_cbranch_scc1 .LBB0_90
.LBB0_134:                              ;   in Loop: Header=BB0_63 Depth=1
	s_wait_xcnt 0x0
	s_lshl_b32 s1, s0, 2
	s_add_co_i32 s0, s0, 1
	scratch_store_b32 off, v38, s1
	s_cmp_eq_u32 s19, 26
	s_cbranch_scc1 .LBB0_91
.LBB0_135:                              ;   in Loop: Header=BB0_63 Depth=1
	s_wait_xcnt 0x0
	s_lshl_b32 s1, s0, 2
	s_add_co_i32 s0, s0, 1
	scratch_store_b32 off, v39, s1
	s_cmp_eq_u32 s19, 27
	s_cbranch_scc1 .LBB0_92
.LBB0_136:                              ;   in Loop: Header=BB0_63 Depth=1
	s_wait_xcnt 0x0
	s_lshl_b32 s1, s0, 2
	s_add_co_i32 s0, s0, 1
	scratch_store_b32 off, v40, s1
	s_cmp_eq_u32 s19, 28
	s_cbranch_scc1 .LBB0_93
.LBB0_137:                              ;   in Loop: Header=BB0_63 Depth=1
	s_wait_xcnt 0x0
	s_lshl_b32 s1, s0, 2
	s_add_co_i32 s0, s0, 1
	scratch_store_b32 off, v41, s1
	s_cmp_eq_u32 s19, 29
	s_cbranch_scc1 .LBB0_94
.LBB0_138:                              ;   in Loop: Header=BB0_63 Depth=1
	s_wait_xcnt 0x0
	s_lshl_b32 s1, s0, 2
	s_add_co_i32 s0, s0, 1
	scratch_store_b32 off, v42, s1
	s_cmp_eq_u32 s19, 30
	s_cbranch_scc1 .LBB0_95
.LBB0_139:                              ;   in Loop: Header=BB0_63 Depth=1
	s_wait_xcnt 0x0
	s_lshl_b32 s1, s0, 2
	s_add_co_i32 s0, s0, 1
	scratch_store_b32 off, v43, s1
	s_cmp_eq_u32 s19, 31
	s_cbranch_scc1 .LBB0_96
.LBB0_140:                              ;   in Loop: Header=BB0_63 Depth=1
	s_wait_xcnt 0x0
	s_lshl_b32 s1, s0, 2
	s_add_co_i32 s0, s0, 1
	scratch_store_b32 off, v44, s1
	s_cmp_eq_u32 s19, 32
	s_cbranch_scc1 .LBB0_97
.LBB0_141:                              ;   in Loop: Header=BB0_63 Depth=1
	s_wait_xcnt 0x0
	s_lshl_b32 s1, s0, 2
	s_add_co_i32 s0, s0, 1
	scratch_store_b32 off, v45, s1
	s_cmp_eq_u32 s19, 33
	s_cbranch_scc1 .LBB0_98
.LBB0_142:                              ;   in Loop: Header=BB0_63 Depth=1
	s_wait_xcnt 0x0
	s_lshl_b32 s1, s0, 2
	s_add_co_i32 s0, s0, 1
	scratch_store_b32 off, v46, s1
	s_cmp_eq_u32 s19, 34
	s_cbranch_scc1 .LBB0_99
.LBB0_143:                              ;   in Loop: Header=BB0_63 Depth=1
	s_wait_xcnt 0x0
	s_lshl_b32 s1, s0, 2
	s_add_co_i32 s0, s0, 1
	scratch_store_b32 off, v47, s1
	s_cmp_eq_u32 s19, 35
	s_cbranch_scc1 .LBB0_100
.LBB0_144:                              ;   in Loop: Header=BB0_63 Depth=1
	s_wait_xcnt 0x0
	s_lshl_b32 s1, s0, 2
	s_add_co_i32 s0, s0, 1
	scratch_store_b32 off, v48, s1
	s_cmp_eq_u32 s19, 36
	s_cbranch_scc1 .LBB0_101
.LBB0_145:                              ;   in Loop: Header=BB0_63 Depth=1
	s_wait_xcnt 0x0
	s_lshl_b32 s1, s0, 2
	s_add_co_i32 s0, s0, 1
	scratch_store_b32 off, v49, s1
	s_cmp_eq_u32 s19, 37
	s_cbranch_scc1 .LBB0_102
.LBB0_146:                              ;   in Loop: Header=BB0_63 Depth=1
	s_wait_xcnt 0x0
	s_lshl_b32 s1, s0, 2
	s_add_co_i32 s0, s0, 1
	scratch_store_b32 off, v50, s1
	s_cmp_eq_u32 s19, 38
	s_cbranch_scc1 .LBB0_103
.LBB0_147:                              ;   in Loop: Header=BB0_63 Depth=1
	s_wait_xcnt 0x0
	s_lshl_b32 s1, s0, 2
	s_add_co_i32 s0, s0, 1
	scratch_store_b32 off, v51, s1
	s_cmp_eq_u32 s19, 39
	s_cbranch_scc1 .LBB0_104
.LBB0_148:                              ;   in Loop: Header=BB0_63 Depth=1
	s_wait_xcnt 0x0
	s_lshl_b32 s1, s0, 2
	s_add_co_i32 s0, s0, 1
	scratch_store_b32 off, v52, s1
	s_cmp_eq_u32 s19, 40
	s_cbranch_scc1 .LBB0_105
.LBB0_149:                              ;   in Loop: Header=BB0_63 Depth=1
	s_wait_xcnt 0x0
	s_lshl_b32 s1, s0, 2
	s_add_co_i32 s0, s0, 1
	scratch_store_b32 off, v53, s1
	s_cmp_eq_u32 s19, 41
	s_cbranch_scc1 .LBB0_106
.LBB0_150:                              ;   in Loop: Header=BB0_63 Depth=1
	s_wait_xcnt 0x0
	s_lshl_b32 s1, s0, 2
	s_add_co_i32 s0, s0, 1
	scratch_store_b32 off, v54, s1
	s_cmp_eq_u32 s19, 42
	s_cbranch_scc1 .LBB0_107
.LBB0_151:                              ;   in Loop: Header=BB0_63 Depth=1
	s_wait_xcnt 0x0
	s_lshl_b32 s1, s0, 2
	s_add_co_i32 s0, s0, 1
	scratch_store_b32 off, v55, s1
	s_cmp_eq_u32 s19, 43
	s_cbranch_scc1 .LBB0_108
.LBB0_152:                              ;   in Loop: Header=BB0_63 Depth=1
	s_wait_xcnt 0x0
	s_lshl_b32 s1, s0, 2
	s_add_co_i32 s0, s0, 1
	scratch_store_b32 off, v56, s1
	s_cmp_eq_u32 s19, 44
	s_cbranch_scc1 .LBB0_109
.LBB0_153:                              ;   in Loop: Header=BB0_63 Depth=1
	s_lshl_b32 s0, s0, 2
	scratch_store_b32 off, v57, s0
	s_wait_xcnt 0x0
	s_and_saveexec_b32 s4, vcc_lo
	s_cbranch_execz .LBB0_157
.LBB0_154:                              ;   in Loop: Header=BB0_63 Depth=1
	s_mov_b64 s[2:3], 0
	s_mov_b32 s5, 0
.LBB0_155:                              ;   Parent Loop BB0_63 Depth=1
                                        ; =>  This Inner Loop Header: Depth=2
	s_cmp_lg_u32 s2, 4
	s_cselect_b32 s0, -1, 0
	s_cmp_lg_u32 s2, 3
	v_cndmask_b32_e64 v12, 0, v12, s0
	s_cselect_b32 s0, -1, 0
	s_cmp_lg_u32 s2, 2
	v_cndmask_b32_e64 v11, 0, v11, s0
	s_cselect_b32 s0, -1, 0
	s_cmp_lg_u32 s2, 1
	s_cselect_b32 s1, -1, 0
	s_cmp_lg_u32 s2, 0
	s_add_nc_u64 s[2:3], s[2:3], 1
	v_dual_cndmask_b32 v10, 0, v10, s0 :: v_dual_cndmask_b32 v9, 0, v9, s1
	v_cmp_eq_u32_e64 s0, s2, v18
	s_cselect_b32 s1, -1, 0
	s_delay_alu instid0(SALU_CYCLE_1) | instskip(SKIP_1) | instid1(SALU_CYCLE_1)
	v_cndmask_b32_e64 v8, 0, v8, s1
	s_or_b32 s5, s0, s5
	s_and_not1_b32 exec_lo, exec_lo, s5
	s_cbranch_execnz .LBB0_155
; %bb.156:                              ;   in Loop: Header=BB0_63 Depth=1
	s_or_b32 exec_lo, exec_lo, s5
.LBB0_157:                              ;   in Loop: Header=BB0_63 Depth=1
	s_delay_alu instid0(SALU_CYCLE_1) | instskip(SKIP_3) | instid1(VALU_DEP_1)
	s_or_b32 exec_lo, exec_lo, s4
	v_mad_u32 v14, s19, s16, v13
	s_mov_b32 s20, 0
	s_mov_b32 s21, 0
	v_ashrrev_i32_e32 v15, 31, v14
	s_wait_kmcnt 0x0
	s_delay_alu instid0(VALU_DEP_1)
	v_lshl_add_u64 v[14:15], v[14:15], 2, s[8:9]
	s_branch .LBB0_160
.LBB0_158:                              ;   in Loop: Header=BB0_160 Depth=2
	v_dual_mov_b32 v60, v17 :: v_dual_ashrrev_i32 v61, 31, v17
	v_dual_mov_b32 v62, v16 :: v_dual_ashrrev_i32 v63, 31, v16
	global_load_b32 v7, v16, s[6:7] scale_offset
	s_add_co_i32 s21, s21, 1
	v_lshl_add_u64 v[60:61], v[60:61], 2, s[6:7]
	s_xor_b32 s1, exec_lo, -1
	s_delay_alu instid0(VALU_DEP_1)
	v_lshl_add_u64 v[60:61], v[62:63], 2, v[60:61]
	s_clause 0x2
	global_load_b32 v16, v17, s[6:7] scale_offset
	global_load_b32 v59, v[60:61], off offset:4
	global_load_b32 v62, v6, s[6:7] offset:4
	global_load_b32 v63, v[14:15], off
	s_wait_loadcnt 0x4
	v_add_f32_e32 v7, 0, v7
	s_wait_loadcnt 0x3
	s_delay_alu instid0(VALU_DEP_1) | instskip(SKIP_1) | instid1(VALU_DEP_1)
	v_add_f32_e32 v7, v7, v16
	s_wait_loadcnt 0x2
	v_sub_f32_e32 v7, v7, v59
	s_wait_loadcnt 0x1
	s_delay_alu instid0(VALU_DEP_1) | instskip(SKIP_1) | instid1(VALU_DEP_1)
	v_add_f32_e32 v7, v7, v62
	s_wait_loadcnt 0x0
	v_add_f32_e32 v7, v63, v7
	global_store_b32 v[14:15], v7, off
.LBB0_159:                              ;   in Loop: Header=BB0_160 Depth=2
	s_wait_xcnt 0x0
	s_or_b32 exec_lo, exec_lo, s12
	s_delay_alu instid0(SALU_CYCLE_1) | instskip(NEXT) | instid1(SALU_CYCLE_1)
	s_and_b32 s0, exec_lo, s1
	s_or_b32 s20, s0, s20
	s_delay_alu instid0(SALU_CYCLE_1)
	s_and_not1_b32 exec_lo, exec_lo, s20
	s_cbranch_execz .LBB0_62
.LBB0_160:                              ;   Parent Loop BB0_63 Depth=1
                                        ; =>  This Loop Header: Depth=2
                                        ;       Child Loop BB0_162 Depth 3
                                        ;       Child Loop BB0_176 Depth 3
	;; [unrolled: 1-line block ×3, first 2 shown]
                                        ;         Child Loop BB0_199 Depth 4
                                        ;         Child Loop BB0_205 Depth 4
	;; [unrolled: 1-line block ×3, first 2 shown]
	v_mov_b32_e32 v7, 1
	s_and_saveexec_b32 s1, vcc_lo
	s_cbranch_execz .LBB0_164
; %bb.161:                              ;   in Loop: Header=BB0_160 Depth=2
	v_mov_b32_e32 v16, v5
	s_mov_b32 s3, 1
	s_mov_b32 s2, 0
.LBB0_162:                              ;   Parent Loop BB0_63 Depth=1
                                        ;     Parent Loop BB0_160 Depth=2
                                        ; =>    This Inner Loop Header: Depth=3
	s_lshl_b32 s3, s3, 1
	s_delay_alu instid0(VALU_DEP_1) | instid1(SALU_CYCLE_1)
	v_dual_mov_b32 v7, s3 :: v_dual_add_nc_u32 v16, -1, v16
	s_delay_alu instid0(VALU_DEP_1) | instskip(SKIP_1) | instid1(SALU_CYCLE_1)
	v_cmp_eq_u32_e64 s0, 0, v16
	s_or_b32 s2, s0, s2
	s_and_not1_b32 exec_lo, exec_lo, s2
	s_cbranch_execnz .LBB0_162
; %bb.163:                              ;   in Loop: Header=BB0_160 Depth=2
	s_or_b32 exec_lo, exec_lo, s2
.LBB0_164:                              ;   in Loop: Header=BB0_160 Depth=2
	s_delay_alu instid0(SALU_CYCLE_1) | instskip(NEXT) | instid1(VALU_DEP_1)
	s_or_b32 exec_lo, exec_lo, s1
	v_cmp_lt_u32_e64 s0, s21, v7
	s_cmp_lg_u32 s21, 0
	s_cselect_b32 s1, -1, 0
	s_delay_alu instid0(SALU_CYCLE_1) | instskip(NEXT) | instid1(SALU_CYCLE_1)
	s_and_b32 s1, s1, s0
	s_and_saveexec_b32 s5, s1
	s_cbranch_execz .LBB0_188
; %bb.165:                              ;   in Loop: Header=BB0_160 Depth=2
	v_add_nc_u32_e32 v7, 1, v8
	v_cmp_lt_i32_e64 s1, 0, v8
	s_delay_alu instid0(VALU_DEP_2)
	v_mov_b32_e32 v8, v7
	s_and_saveexec_b32 s22, s1
	s_cbranch_execz .LBB0_187
; %bb.166:                              ;   in Loop: Header=BB0_160 Depth=2
	s_mov_b32 s23, 0
	s_mov_b64 s[12:13], 9
	v_mov_b32_e32 v8, s23
                                        ; implicit-def: $sgpr24
	s_branch .LBB0_176
.LBB0_167:                              ;   in Loop: Header=BB0_176 Depth=3
	s_or_b32 exec_lo, exec_lo, s2
	s_delay_alu instid0(SALU_CYCLE_1)
	s_or_not1_b32 s2, s3, exec_lo
.LBB0_168:                              ;   in Loop: Header=BB0_176 Depth=3
	s_or_b32 exec_lo, exec_lo, s15
	s_delay_alu instid0(SALU_CYCLE_1)
	s_or_not1_b32 s2, s2, exec_lo
.LBB0_169:                              ;   in Loop: Header=BB0_176 Depth=3
	s_or_b32 exec_lo, exec_lo, s31
	s_delay_alu instid0(SALU_CYCLE_1)
	s_or_not1_b32 s2, s2, exec_lo
.LBB0_170:                              ;   in Loop: Header=BB0_176 Depth=3
	s_or_b32 exec_lo, exec_lo, s30
	s_delay_alu instid0(SALU_CYCLE_1)
	s_or_not1_b32 s2, s2, exec_lo
.LBB0_171:                              ;   in Loop: Header=BB0_176 Depth=3
	s_or_b32 exec_lo, exec_lo, s29
	s_delay_alu instid0(SALU_CYCLE_1)
	s_or_not1_b32 s2, s2, exec_lo
.LBB0_172:                              ;   in Loop: Header=BB0_176 Depth=3
	s_or_b32 exec_lo, exec_lo, s28
	s_delay_alu instid0(SALU_CYCLE_1)
	s_or_not1_b32 s2, s2, exec_lo
.LBB0_173:                              ;   in Loop: Header=BB0_176 Depth=3
	s_or_b32 exec_lo, exec_lo, s27
	s_delay_alu instid0(SALU_CYCLE_1)
	s_or_not1_b32 s2, s2, exec_lo
.LBB0_174:                              ;   in Loop: Header=BB0_176 Depth=3
	s_or_b32 exec_lo, exec_lo, s26
	s_delay_alu instid0(SALU_CYCLE_1) | instskip(SKIP_1) | instid1(SALU_CYCLE_1)
	s_and_not1_b32 s1, s24, exec_lo
	s_and_b32 s2, s2, exec_lo
	s_or_b32 s24, s1, s2
.LBB0_175:                              ;   in Loop: Header=BB0_176 Depth=3
	s_or_b32 exec_lo, exec_lo, s25
	s_delay_alu instid0(SALU_CYCLE_1) | instskip(NEXT) | instid1(SALU_CYCLE_1)
	s_and_b32 s1, exec_lo, s24
	s_or_b32 s23, s1, s23
	s_delay_alu instid0(SALU_CYCLE_1)
	s_and_not1_b32 exec_lo, exec_lo, s23
	s_cbranch_execz .LBB0_186
.LBB0_176:                              ;   Parent Loop BB0_63 Depth=1
                                        ;     Parent Loop BB0_160 Depth=2
                                        ; =>    This Inner Loop Header: Depth=3
	s_add_nc_u64 s[14:15], s[12:13], -8
	s_mov_b32 s25, exec_lo
	s_cmp_eq_u32 s14, 1
	s_cselect_b32 s1, -1, 0
	s_cmp_eq_u32 s14, 2
	s_cselect_b32 s2, -1, 0
	;; [unrolled: 2-line block ×3, first 2 shown]
	v_cndmask_b32_e64 v7, v8, v9, s1
	s_cmp_eq_u32 s14, 4
	s_cselect_b32 s4, -1, 0
	s_cmp_eq_u32 s14, 0
	s_delay_alu instid0(VALU_DEP_1) | instskip(NEXT) | instid1(VALU_DEP_1)
	v_cndmask_b32_e64 v7, v7, v10, s2
	v_cndmask_b32_e64 v7, v7, v11, s3
	s_delay_alu instid0(VALU_DEP_1) | instskip(NEXT) | instid1(VALU_DEP_1)
	v_cndmask_b32_e64 v7, v7, v12, s4
	v_add_nc_u32_e32 v16, 1, v7
	s_delay_alu instid0(VALU_DEP_1)
	v_cndmask_b32_e64 v9, v9, v16, s1
	s_cselect_b32 s1, -1, 0
	v_dual_cndmask_b32 v12, v12, v16, s4 :: v_dual_cndmask_b32 v11, v11, v16, s3
	v_dual_cndmask_b32 v10, v10, v16, s2 :: v_dual_cndmask_b32 v8, v8, v16, s1
	s_or_b32 s24, s24, exec_lo
	v_cmpx_lt_i32_e32 0, v7
	s_cbranch_execz .LBB0_175
; %bb.177:                              ;   in Loop: Header=BB0_176 Depth=3
	s_cmp_lg_u32 s14, 4
	s_mov_b32 s26, exec_lo
	s_cselect_b32 s1, -1, 0
	s_cmp_lg_u32 s14, 3
	s_cselect_b32 s2, -1, 0
	s_cmp_lg_u32 s14, 2
	s_cselect_b32 s3, -1, 0
	s_cmp_lg_u32 s14, 1
	s_cselect_b32 s4, -1, 0
	s_cmp_lg_u32 s14, 0
	v_cndmask_b32_e64 v7, 0, v9, s4
	s_cselect_b32 s4, -1, 0
	s_add_nc_u64 s[14:15], s[12:13], -7
	v_cndmask_b32_e64 v8, 0, v8, s4
	s_cmp_eq_u32 s14, 1
	v_cndmask_b32_e64 v9, 0, v10, s3
	s_cselect_b32 s3, -1, 0
	s_cmp_eq_u32 s14, 2
	v_cndmask_b32_e64 v10, v8, v7, s3
	v_cndmask_b32_e64 v11, 0, v11, s2
	s_cselect_b32 s2, -1, 0
	s_cmp_eq_u32 s14, 3
	s_delay_alu instid0(VALU_DEP_2) | instskip(SKIP_2) | instid1(VALU_DEP_1)
	v_dual_cndmask_b32 v10, v10, v9, s2 :: v_dual_cndmask_b32 v12, 0, v12, s1
	s_cselect_b32 s1, -1, 0
	s_cmp_eq_u32 s14, 4
	v_cndmask_b32_e64 v10, v10, v11, s1
	s_cselect_b32 s4, -1, 0
	s_cmp_eq_u32 s14, 0
	s_delay_alu instid0(VALU_DEP_1) | instskip(NEXT) | instid1(VALU_DEP_1)
	v_cndmask_b32_e64 v16, v10, v12, s4
	v_add_nc_u32_e32 v17, 1, v16
	s_delay_alu instid0(VALU_DEP_1)
	v_dual_cndmask_b32 v11, v11, v17, s1 :: v_dual_cndmask_b32 v10, v9, v17, s2
	s_cselect_b32 s1, -1, 0
	v_dual_cndmask_b32 v12, v12, v17, s4 :: v_dual_cndmask_b32 v9, v7, v17, s3
	v_cndmask_b32_e64 v8, v8, v17, s1
	s_mov_b32 s2, -1
	v_cmpx_lt_i32_e32 0, v16
	s_cbranch_execz .LBB0_174
; %bb.178:                              ;   in Loop: Header=BB0_176 Depth=3
	s_cmp_lg_u32 s14, 4
	s_mov_b32 s27, exec_lo
	s_cselect_b32 s1, -1, 0
	s_cmp_lg_u32 s14, 3
	s_cselect_b32 s2, -1, 0
	s_cmp_lg_u32 s14, 2
	s_cselect_b32 s3, -1, 0
	s_cmp_lg_u32 s14, 1
	s_cselect_b32 s4, -1, 0
	s_cmp_lg_u32 s14, 0
	v_cndmask_b32_e64 v7, 0, v9, s4
	s_cselect_b32 s4, -1, 0
	s_add_nc_u64 s[14:15], s[12:13], -6
	v_cndmask_b32_e64 v8, 0, v8, s4
	s_cmp_eq_u32 s14, 1
	v_cndmask_b32_e64 v9, 0, v10, s3
	s_cselect_b32 s3, -1, 0
	s_cmp_eq_u32 s14, 2
	v_cndmask_b32_e64 v10, v8, v7, s3
	v_cndmask_b32_e64 v11, 0, v11, s2
	s_cselect_b32 s2, -1, 0
	s_cmp_eq_u32 s14, 3
	s_delay_alu instid0(VALU_DEP_2) | instskip(SKIP_2) | instid1(VALU_DEP_1)
	v_dual_cndmask_b32 v10, v10, v9, s2 :: v_dual_cndmask_b32 v12, 0, v12, s1
	s_cselect_b32 s1, -1, 0
	s_cmp_eq_u32 s14, 4
	v_cndmask_b32_e64 v10, v10, v11, s1
	s_cselect_b32 s4, -1, 0
	s_cmp_eq_u32 s14, 0
	s_delay_alu instid0(VALU_DEP_1) | instskip(NEXT) | instid1(VALU_DEP_1)
	v_cndmask_b32_e64 v16, v10, v12, s4
	v_add_nc_u32_e32 v17, 1, v16
	s_delay_alu instid0(VALU_DEP_1)
	v_dual_cndmask_b32 v11, v11, v17, s1 :: v_dual_cndmask_b32 v10, v9, v17, s2
	s_cselect_b32 s1, -1, 0
	v_dual_cndmask_b32 v12, v12, v17, s4 :: v_dual_cndmask_b32 v9, v7, v17, s3
	v_cndmask_b32_e64 v8, v8, v17, s1
	s_mov_b32 s2, -1
	;; [unrolled: 41-line block ×6, first 2 shown]
	v_cmpx_lt_i32_e32 0, v16
	s_cbranch_execz .LBB0_169
; %bb.183:                              ;   in Loop: Header=BB0_176 Depth=3
	s_cmp_lg_u32 s14, 4
	s_cselect_b32 s1, -1, 0
	s_cmp_lg_u32 s14, 3
	s_cselect_b32 s2, -1, 0
	s_cmp_lg_u32 s14, 2
	s_cselect_b32 s3, -1, 0
	s_cmp_lg_u32 s14, 1
	s_cselect_b32 s4, -1, 0
	s_cmp_lg_u32 s14, 0
	v_cndmask_b32_e64 v7, 0, v9, s4
	s_cselect_b32 s4, -1, 0
	s_add_nc_u64 s[14:15], s[12:13], -1
	v_cndmask_b32_e64 v8, 0, v8, s4
	s_cmp_eq_u32 s14, 1
	v_cndmask_b32_e64 v9, 0, v10, s3
	s_cselect_b32 s3, -1, 0
	s_cmp_eq_u32 s14, 2
	v_cndmask_b32_e64 v10, v8, v7, s3
	v_cndmask_b32_e64 v11, 0, v11, s2
	s_cselect_b32 s2, -1, 0
	s_cmp_eq_u32 s14, 3
	s_mov_b32 s15, exec_lo
	v_dual_cndmask_b32 v10, v10, v9, s2 :: v_dual_cndmask_b32 v12, 0, v12, s1
	s_cselect_b32 s1, -1, 0
	s_cmp_eq_u32 s14, 4
	s_delay_alu instid0(VALU_DEP_1) | instskip(SKIP_2) | instid1(VALU_DEP_1)
	v_cndmask_b32_e64 v10, v10, v11, s1
	s_cselect_b32 s4, -1, 0
	s_cmp_eq_u32 s14, 0
	v_cndmask_b32_e64 v16, v10, v12, s4
	s_delay_alu instid0(VALU_DEP_1) | instskip(NEXT) | instid1(VALU_DEP_1)
	v_add_nc_u32_e32 v17, 1, v16
	v_dual_cndmask_b32 v11, v11, v17, s1 :: v_dual_cndmask_b32 v10, v9, v17, s2
	s_cselect_b32 s1, -1, 0
	v_dual_cndmask_b32 v12, v12, v17, s4 :: v_dual_cndmask_b32 v9, v7, v17, s3
	v_cndmask_b32_e64 v8, v8, v17, s1
	s_mov_b32 s2, -1
	v_cmpx_lt_i32_e32 0, v16
	s_cbranch_execz .LBB0_168
; %bb.184:                              ;   in Loop: Header=BB0_176 Depth=3
	s_cmp_lg_u32 s14, 4
	s_cselect_b32 s1, -1, 0
	s_cmp_lg_u32 s14, 3
	v_cndmask_b32_e64 v7, 0, v12, s1
	s_cselect_b32 s1, -1, 0
	s_cmp_lg_u32 s14, 2
	v_cndmask_b32_e64 v11, 0, v11, s1
	;; [unrolled: 3-line block ×4, first 2 shown]
	s_cselect_b32 s1, -1, 0
	s_cmp_eq_u32 s12, 1
	v_cndmask_b32_e64 v8, 0, v8, s1
	s_cselect_b32 s1, -1, 0
	s_cmp_eq_u32 s12, 2
	s_cselect_b32 s2, -1, 0
	s_delay_alu instid0(VALU_DEP_1) | instskip(SKIP_3) | instid1(VALU_DEP_1)
	v_cndmask_b32_e64 v12, v8, v9, s1
	s_cmp_eq_u32 s12, 3
	s_cselect_b32 s3, -1, 0
	s_cmp_eq_u32 s12, 4
	v_cndmask_b32_e64 v12, v12, v10, s2
	s_cselect_b32 s4, -1, 0
	s_cmp_eq_u32 s12, 0
	s_delay_alu instid0(VALU_DEP_1) | instskip(NEXT) | instid1(VALU_DEP_1)
	v_cndmask_b32_e64 v12, v12, v11, s3
	v_cndmask_b32_e64 v16, v12, v7, s4
	s_delay_alu instid0(VALU_DEP_1) | instskip(NEXT) | instid1(VALU_DEP_1)
	v_add_nc_u32_e32 v17, 1, v16
	v_dual_cndmask_b32 v10, v10, v17, s2 :: v_dual_cndmask_b32 v9, v9, v17, s1
	s_cselect_b32 s1, -1, 0
	v_cndmask_b32_e64 v12, v7, v17, s4
	v_dual_cndmask_b32 v11, v11, v17, s3 :: v_dual_cndmask_b32 v8, v8, v17, s1
	s_mov_b32 s3, -1
	s_mov_b32 s2, exec_lo
	v_cmpx_lt_i32_e32 0, v16
	s_cbranch_execz .LBB0_167
; %bb.185:                              ;   in Loop: Header=BB0_176 Depth=3
	s_cmp_lg_u32 s12, 4
	s_cselect_b32 s1, -1, 0
	s_cmp_lg_u32 s12, 3
	v_cndmask_b32_e64 v12, 0, v12, s1
	s_cselect_b32 s1, -1, 0
	s_cmp_lg_u32 s12, 2
	v_cndmask_b32_e64 v11, 0, v11, s1
	;; [unrolled: 3-line block ×3, first 2 shown]
	s_cselect_b32 s1, -1, 0
	s_cmp_lg_u32 s12, 0
	s_add_nc_u64 s[12:13], s[12:13], 9
	v_cndmask_b32_e64 v9, 0, v9, s1
	s_cselect_b32 s1, -1, 0
	s_cmp_eq_u32 s12, 54
	v_cndmask_b32_e64 v8, 0, v8, s1
	s_cselect_b32 s1, -1, 0
	s_delay_alu instid0(SALU_CYCLE_1)
	s_or_not1_b32 s3, s1, exec_lo
	s_branch .LBB0_167
.LBB0_186:                              ;   in Loop: Header=BB0_160 Depth=2
	s_or_b32 exec_lo, exec_lo, s23
.LBB0_187:                              ;   in Loop: Header=BB0_160 Depth=2
	s_delay_alu instid0(SALU_CYCLE_1)
	s_or_b32 exec_lo, exec_lo, s22
.LBB0_188:                              ;   in Loop: Header=BB0_160 Depth=2
	s_delay_alu instid0(SALU_CYCLE_1)
	s_or_b32 exec_lo, exec_lo, s5
	s_mov_b32 s1, -1
	s_and_saveexec_b32 s12, s0
	s_cbranch_execz .LBB0_159
; %bb.189:                              ;   in Loop: Header=BB0_160 Depth=2
	v_mov_b64_e32 v[16:17], 0
	s_mov_b32 s13, 0
	s_branch .LBB0_191
.LBB0_190:                              ;   in Loop: Header=BB0_191 Depth=3
	s_or_b32 exec_lo, exec_lo, s1
	s_add_co_i32 s13, s13, 3
	s_delay_alu instid0(SALU_CYCLE_1)
	s_cmp_eq_u32 s13, 0x258
	s_cbranch_scc1 .LBB0_158
.LBB0_191:                              ;   Parent Loop BB0_63 Depth=1
                                        ;     Parent Loop BB0_160 Depth=2
                                        ; =>    This Loop Header: Depth=3
                                        ;         Child Loop BB0_199 Depth 4
                                        ;         Child Loop BB0_205 Depth 4
	;; [unrolled: 1-line block ×3, first 2 shown]
	s_mul_i32 s14, s13, 45
	s_mov_b32 s0, -1
	s_and_saveexec_b32 s15, vcc_lo
	s_cbranch_execnz .LBB0_197
; %bb.192:                              ;   in Loop: Header=BB0_191 Depth=3
	s_or_b32 exec_lo, exec_lo, s15
	s_and_saveexec_b32 s1, s0
	s_cbranch_execnz .LBB0_202
.LBB0_193:                              ;   in Loop: Header=BB0_191 Depth=3
	s_or_b32 exec_lo, exec_lo, s1
	s_mov_b32 s0, -1
	s_and_saveexec_b32 s15, vcc_lo
	s_cbranch_execnz .LBB0_203
.LBB0_194:                              ;   in Loop: Header=BB0_191 Depth=3
	s_or_b32 exec_lo, exec_lo, s15
	s_and_saveexec_b32 s1, s0
	s_cbranch_execnz .LBB0_208
.LBB0_195:                              ;   in Loop: Header=BB0_191 Depth=3
	s_or_b32 exec_lo, exec_lo, s1
	s_mov_b32 s0, -1
	s_and_saveexec_b32 s15, vcc_lo
	s_cbranch_execnz .LBB0_209
.LBB0_196:                              ;   in Loop: Header=BB0_191 Depth=3
	s_or_b32 exec_lo, exec_lo, s15
	s_and_saveexec_b32 s1, s0
	s_cbranch_execz .LBB0_190
	s_branch .LBB0_214
.LBB0_197:                              ;   in Loop: Header=BB0_191 Depth=3
	s_mov_b64 s[4:5], 0
	s_mov_b32 s22, 0
                                        ; implicit-def: $sgpr23
                                        ; implicit-def: $sgpr25
                                        ; implicit-def: $sgpr24
	s_branch .LBB0_199
.LBB0_198:                              ;   in Loop: Header=BB0_199 Depth=4
	s_or_b32 exec_lo, exec_lo, s1
	s_xor_b32 s0, s24, -1
	s_and_b32 s1, exec_lo, s25
	s_delay_alu instid0(SALU_CYCLE_1) | instskip(SKIP_2) | instid1(SALU_CYCLE_1)
	s_or_b32 s22, s1, s22
	s_and_not1_b32 s1, s23, exec_lo
	s_and_b32 s0, s0, exec_lo
	s_or_b32 s23, s1, s0
	s_and_not1_b32 exec_lo, exec_lo, s22
	s_cbranch_execz .LBB0_201
.LBB0_199:                              ;   Parent Loop BB0_63 Depth=1
                                        ;     Parent Loop BB0_160 Depth=2
                                        ;       Parent Loop BB0_191 Depth=3
                                        ; =>      This Inner Loop Header: Depth=4
	s_cmp_eq_u32 s4, 1
	s_cselect_b32 s0, -1, 0
	s_cmp_eq_u32 s4, 2
	v_cndmask_b32_e64 v59, v8, v9, s0
	s_cselect_b32 s1, -1, 0
	v_cndmask_b32_e64 v7, v0, v1, s0
	s_cmp_eq_u32 s4, 3
	s_cselect_b32 s2, -1, 0
	v_cndmask_b32_e64 v59, v59, v10, s1
	s_delay_alu instid0(VALU_DEP_2)
	v_cndmask_b32_e64 v7, v7, v2, s1
	s_cmp_eq_u32 s4, 4
	s_mov_b32 s1, exec_lo
	s_cselect_b32 s3, -1, 0
	v_cndmask_b32_e64 v59, v59, v11, s2
	v_cndmask_b32_e64 v7, v7, v3, s2
	s_or_b32 s24, s24, exec_lo
	s_or_b32 s25, s25, exec_lo
	s_delay_alu instid0(VALU_DEP_2) | instskip(NEXT) | instid1(VALU_DEP_2)
	v_cndmask_b32_e64 v59, v59, v12, s3
	v_cndmask_b32_e64 v7, v7, v4, s3
	scratch_load_b32 v7, v7, off scale_offset
	s_wait_loadcnt 0x0
	v_add_nc_u32_e32 v7, s14, v7
	global_load_b32 v7, v7, s[10:11] scale_offset
	s_wait_loadcnt 0x0
	v_cmpx_eq_u32_e64 v7, v59
	s_cbranch_execz .LBB0_198
; %bb.200:                              ;   in Loop: Header=BB0_199 Depth=4
	s_add_nc_u64 s[4:5], s[4:5], 1
	s_and_not1_b32 s2, s25, exec_lo
	v_cmp_eq_u32_e64 s0, s4, v18
	s_and_not1_b32 s24, s24, exec_lo
	s_and_b32 s0, s0, exec_lo
	s_delay_alu instid0(SALU_CYCLE_1)
	s_or_b32 s25, s2, s0
	s_branch .LBB0_198
.LBB0_201:                              ;   in Loop: Header=BB0_191 Depth=3
	s_or_b32 exec_lo, exec_lo, s22
	s_delay_alu instid0(SALU_CYCLE_1)
	s_or_not1_b32 s0, s23, exec_lo
	s_or_b32 exec_lo, exec_lo, s15
	s_and_saveexec_b32 s1, s0
	s_cbranch_execz .LBB0_193
.LBB0_202:                              ;   in Loop: Header=BB0_191 Depth=3
	s_add_co_i32 s0, s14, s19
	s_load_b32 s2, s[10:11], s0 offset:0x0 scale_offset
	s_wait_kmcnt 0x0
	s_cmp_eq_u32 s2, 1
	s_cselect_b32 s0, -1, 0
	s_cmp_eq_u32 s2, 0
	v_cndmask_b32_e64 v7, v16, v17, s0
	s_delay_alu instid0(VALU_DEP_1) | instskip(NEXT) | instid1(VALU_DEP_1)
	v_add_nc_u32_e32 v7, 1, v7
	v_cndmask_b32_e64 v17, v17, v7, s0
	s_cselect_b32 s0, -1, 0
	s_delay_alu instid0(SALU_CYCLE_1)
	v_cndmask_b32_e64 v16, v16, v7, s0
	s_or_b32 exec_lo, exec_lo, s1
	s_mov_b32 s0, -1
	s_and_saveexec_b32 s15, vcc_lo
	s_cbranch_execz .LBB0_194
.LBB0_203:                              ;   in Loop: Header=BB0_191 Depth=3
	s_add_co_i32 s22, s14, 45
	s_mov_b64 s[4:5], 0
	s_mov_b32 s23, 0
                                        ; implicit-def: $sgpr24
                                        ; implicit-def: $sgpr26
                                        ; implicit-def: $sgpr25
	s_branch .LBB0_205
.LBB0_204:                              ;   in Loop: Header=BB0_205 Depth=4
	s_or_b32 exec_lo, exec_lo, s1
	s_xor_b32 s0, s25, -1
	s_and_b32 s1, exec_lo, s26
	s_delay_alu instid0(SALU_CYCLE_1) | instskip(SKIP_2) | instid1(SALU_CYCLE_1)
	s_or_b32 s23, s1, s23
	s_and_not1_b32 s1, s24, exec_lo
	s_and_b32 s0, s0, exec_lo
	s_or_b32 s24, s1, s0
	s_and_not1_b32 exec_lo, exec_lo, s23
	s_cbranch_execz .LBB0_207
.LBB0_205:                              ;   Parent Loop BB0_63 Depth=1
                                        ;     Parent Loop BB0_160 Depth=2
                                        ;       Parent Loop BB0_191 Depth=3
                                        ; =>      This Inner Loop Header: Depth=4
	s_cmp_eq_u32 s4, 1
	s_cselect_b32 s0, -1, 0
	s_cmp_eq_u32 s4, 2
	v_cndmask_b32_e64 v59, v8, v9, s0
	s_cselect_b32 s1, -1, 0
	v_cndmask_b32_e64 v7, v0, v1, s0
	s_cmp_eq_u32 s4, 3
	s_cselect_b32 s2, -1, 0
	v_cndmask_b32_e64 v59, v59, v10, s1
	s_delay_alu instid0(VALU_DEP_2)
	v_cndmask_b32_e64 v7, v7, v2, s1
	s_cmp_eq_u32 s4, 4
	s_mov_b32 s1, exec_lo
	s_cselect_b32 s3, -1, 0
	v_cndmask_b32_e64 v59, v59, v11, s2
	v_cndmask_b32_e64 v7, v7, v3, s2
	s_or_b32 s25, s25, exec_lo
	s_or_b32 s26, s26, exec_lo
	s_delay_alu instid0(VALU_DEP_2) | instskip(NEXT) | instid1(VALU_DEP_2)
	v_cndmask_b32_e64 v59, v59, v12, s3
	v_cndmask_b32_e64 v7, v7, v4, s3
	scratch_load_b32 v7, v7, off scale_offset
	s_wait_loadcnt 0x0
	v_add_nc_u32_e32 v7, s22, v7
	global_load_b32 v7, v7, s[10:11] scale_offset
	s_wait_loadcnt 0x0
	v_cmpx_eq_u32_e64 v7, v59
	s_cbranch_execz .LBB0_204
; %bb.206:                              ;   in Loop: Header=BB0_205 Depth=4
	s_add_nc_u64 s[4:5], s[4:5], 1
	s_and_not1_b32 s2, s26, exec_lo
	v_cmp_eq_u32_e64 s0, s4, v18
	s_and_not1_b32 s25, s25, exec_lo
	s_and_b32 s0, s0, exec_lo
	s_delay_alu instid0(SALU_CYCLE_1)
	s_or_b32 s26, s2, s0
	s_branch .LBB0_204
.LBB0_207:                              ;   in Loop: Header=BB0_191 Depth=3
	s_or_b32 exec_lo, exec_lo, s23
	s_delay_alu instid0(SALU_CYCLE_1)
	s_or_not1_b32 s0, s24, exec_lo
	s_or_b32 exec_lo, exec_lo, s15
	s_and_saveexec_b32 s1, s0
	s_cbranch_execz .LBB0_195
.LBB0_208:                              ;   in Loop: Header=BB0_191 Depth=3
	s_add_co_i32 s0, s14, s19
	s_load_b32 s2, s[10:11], s0 offset:0xb4 scale_offset
	s_wait_kmcnt 0x0
	s_cmp_eq_u32 s2, 1
	s_cselect_b32 s0, -1, 0
	s_cmp_eq_u32 s2, 0
	v_cndmask_b32_e64 v7, v16, v17, s0
	s_delay_alu instid0(VALU_DEP_1) | instskip(NEXT) | instid1(VALU_DEP_1)
	v_add_nc_u32_e32 v7, 1, v7
	v_cndmask_b32_e64 v17, v17, v7, s0
	s_cselect_b32 s0, -1, 0
	s_delay_alu instid0(SALU_CYCLE_1)
	v_cndmask_b32_e64 v16, v16, v7, s0
	s_or_b32 exec_lo, exec_lo, s1
	s_mov_b32 s0, -1
	s_and_saveexec_b32 s15, vcc_lo
	s_cbranch_execz .LBB0_196
.LBB0_209:                              ;   in Loop: Header=BB0_191 Depth=3
	s_add_co_i32 s22, s14, 0x5a
	s_mov_b64 s[4:5], 0
	s_mov_b32 s23, 0
                                        ; implicit-def: $sgpr24
                                        ; implicit-def: $sgpr26
                                        ; implicit-def: $sgpr25
	s_branch .LBB0_211
.LBB0_210:                              ;   in Loop: Header=BB0_211 Depth=4
	s_or_b32 exec_lo, exec_lo, s1
	s_xor_b32 s0, s25, -1
	s_and_b32 s1, exec_lo, s26
	s_delay_alu instid0(SALU_CYCLE_1) | instskip(SKIP_2) | instid1(SALU_CYCLE_1)
	s_or_b32 s23, s1, s23
	s_and_not1_b32 s1, s24, exec_lo
	s_and_b32 s0, s0, exec_lo
	s_or_b32 s24, s1, s0
	s_and_not1_b32 exec_lo, exec_lo, s23
	s_cbranch_execz .LBB0_213
.LBB0_211:                              ;   Parent Loop BB0_63 Depth=1
                                        ;     Parent Loop BB0_160 Depth=2
                                        ;       Parent Loop BB0_191 Depth=3
                                        ; =>      This Inner Loop Header: Depth=4
	s_cmp_eq_u32 s4, 1
	s_cselect_b32 s0, -1, 0
	s_cmp_eq_u32 s4, 2
	v_cndmask_b32_e64 v59, v8, v9, s0
	s_cselect_b32 s1, -1, 0
	v_cndmask_b32_e64 v7, v0, v1, s0
	s_cmp_eq_u32 s4, 3
	s_cselect_b32 s2, -1, 0
	v_cndmask_b32_e64 v59, v59, v10, s1
	s_delay_alu instid0(VALU_DEP_2)
	v_cndmask_b32_e64 v7, v7, v2, s1
	s_cmp_eq_u32 s4, 4
	s_mov_b32 s1, exec_lo
	s_cselect_b32 s3, -1, 0
	v_cndmask_b32_e64 v59, v59, v11, s2
	v_cndmask_b32_e64 v7, v7, v3, s2
	s_or_b32 s25, s25, exec_lo
	s_or_b32 s26, s26, exec_lo
	s_delay_alu instid0(VALU_DEP_2) | instskip(NEXT) | instid1(VALU_DEP_2)
	v_cndmask_b32_e64 v59, v59, v12, s3
	v_cndmask_b32_e64 v7, v7, v4, s3
	scratch_load_b32 v7, v7, off scale_offset
	s_wait_loadcnt 0x0
	v_add_nc_u32_e32 v7, s22, v7
	global_load_b32 v7, v7, s[10:11] scale_offset
	s_wait_loadcnt 0x0
	v_cmpx_eq_u32_e64 v7, v59
	s_cbranch_execz .LBB0_210
; %bb.212:                              ;   in Loop: Header=BB0_211 Depth=4
	s_add_nc_u64 s[4:5], s[4:5], 1
	s_and_not1_b32 s2, s26, exec_lo
	v_cmp_eq_u32_e64 s0, s4, v18
	s_and_not1_b32 s25, s25, exec_lo
	s_and_b32 s0, s0, exec_lo
	s_delay_alu instid0(SALU_CYCLE_1)
	s_or_b32 s26, s2, s0
	s_branch .LBB0_210
.LBB0_213:                              ;   in Loop: Header=BB0_191 Depth=3
	s_or_b32 exec_lo, exec_lo, s23
	s_delay_alu instid0(SALU_CYCLE_1)
	s_or_not1_b32 s0, s24, exec_lo
	s_or_b32 exec_lo, exec_lo, s15
	s_and_saveexec_b32 s1, s0
	s_cbranch_execz .LBB0_190
.LBB0_214:                              ;   in Loop: Header=BB0_191 Depth=3
	s_add_co_i32 s14, s14, s19
	s_load_b32 s2, s[10:11], s14 offset:0x168 scale_offset
	s_wait_kmcnt 0x0
	s_cmp_eq_u32 s2, 1
	s_cselect_b32 s0, -1, 0
	s_cmp_eq_u32 s2, 0
	v_cndmask_b32_e64 v7, v16, v17, s0
	s_delay_alu instid0(VALU_DEP_1) | instskip(NEXT) | instid1(VALU_DEP_1)
	v_add_nc_u32_e32 v7, 1, v7
	v_cndmask_b32_e64 v17, v17, v7, s0
	s_cselect_b32 s0, -1, 0
	s_delay_alu instid0(SALU_CYCLE_1)
	v_cndmask_b32_e64 v16, v16, v7, s0
	s_branch .LBB0_190
.LBB0_215:
	s_endpgm
	.section	.rodata,"a",@progbits
	.p2align	6, 0x0
	.amdhsa_kernel _Z14genScoreKerneliPfPKiPKf
		.amdhsa_group_segment_fixed_size 0
		.amdhsa_private_segment_fixed_size 192
		.amdhsa_kernarg_size 32
		.amdhsa_user_sgpr_count 2
		.amdhsa_user_sgpr_dispatch_ptr 0
		.amdhsa_user_sgpr_queue_ptr 0
		.amdhsa_user_sgpr_kernarg_segment_ptr 1
		.amdhsa_user_sgpr_dispatch_id 0
		.amdhsa_user_sgpr_kernarg_preload_length 0
		.amdhsa_user_sgpr_kernarg_preload_offset 0
		.amdhsa_user_sgpr_private_segment_size 0
		.amdhsa_wavefront_size32 1
		.amdhsa_uses_dynamic_stack 0
		.amdhsa_enable_private_segment 1
		.amdhsa_system_sgpr_workgroup_id_x 1
		.amdhsa_system_sgpr_workgroup_id_y 0
		.amdhsa_system_sgpr_workgroup_id_z 0
		.amdhsa_system_sgpr_workgroup_info 0
		.amdhsa_system_vgpr_workitem_id 0
		.amdhsa_next_free_vgpr 64
		.amdhsa_next_free_sgpr 32
		.amdhsa_named_barrier_count 0
		.amdhsa_reserve_vcc 1
		.amdhsa_float_round_mode_32 0
		.amdhsa_float_round_mode_16_64 0
		.amdhsa_float_denorm_mode_32 3
		.amdhsa_float_denorm_mode_16_64 3
		.amdhsa_fp16_overflow 0
		.amdhsa_memory_ordered 1
		.amdhsa_forward_progress 1
		.amdhsa_inst_pref_size 68
		.amdhsa_round_robin_scheduling 0
		.amdhsa_exception_fp_ieee_invalid_op 0
		.amdhsa_exception_fp_denorm_src 0
		.amdhsa_exception_fp_ieee_div_zero 0
		.amdhsa_exception_fp_ieee_overflow 0
		.amdhsa_exception_fp_ieee_underflow 0
		.amdhsa_exception_fp_ieee_inexact 0
		.amdhsa_exception_int_div_zero 0
	.end_amdhsa_kernel
	.text
.Lfunc_end0:
	.size	_Z14genScoreKerneliPfPKiPKf, .Lfunc_end0-_Z14genScoreKerneliPfPKiPKf
                                        ; -- End function
	.set _Z14genScoreKerneliPfPKiPKf.num_vgpr, 64
	.set _Z14genScoreKerneliPfPKiPKf.num_agpr, 0
	.set _Z14genScoreKerneliPfPKiPKf.numbered_sgpr, 32
	.set _Z14genScoreKerneliPfPKiPKf.num_named_barrier, 0
	.set _Z14genScoreKerneliPfPKiPKf.private_seg_size, 192
	.set _Z14genScoreKerneliPfPKiPKf.uses_vcc, 1
	.set _Z14genScoreKerneliPfPKiPKf.uses_flat_scratch, 1
	.set _Z14genScoreKerneliPfPKiPKf.has_dyn_sized_stack, 0
	.set _Z14genScoreKerneliPfPKiPKf.has_recursion, 0
	.set _Z14genScoreKerneliPfPKiPKf.has_indirect_call, 0
	.section	.AMDGPU.csdata,"",@progbits
; Kernel info:
; codeLenInByte = 8676
; TotalNumSgprs: 34
; NumVgprs: 64
; ScratchSize: 192
; MemoryBound: 0
; FloatMode: 240
; IeeeMode: 1
; LDSByteSize: 0 bytes/workgroup (compile time only)
; SGPRBlocks: 0
; VGPRBlocks: 3
; NumSGPRsForWavesPerEU: 34
; NumVGPRsForWavesPerEU: 64
; NamedBarCnt: 0
; Occupancy: 16
; WaveLimiterHint : 0
; COMPUTE_PGM_RSRC2:SCRATCH_EN: 1
; COMPUTE_PGM_RSRC2:USER_SGPR: 2
; COMPUTE_PGM_RSRC2:TRAP_HANDLER: 0
; COMPUTE_PGM_RSRC2:TGID_X_EN: 1
; COMPUTE_PGM_RSRC2:TGID_Y_EN: 0
; COMPUTE_PGM_RSRC2:TGID_Z_EN: 0
; COMPUTE_PGM_RSRC2:TIDIG_COMP_CNT: 0
	.text
	.protected	_Z13computeKerneliiPKfPKbiiPfPi ; -- Begin function _Z13computeKerneliiPKfPKbiiPfPi
	.globl	_Z13computeKerneliiPKfPKbiiPfPi
	.p2align	8
	.type	_Z13computeKerneliiPKfPKbiiPfPi,@function
_Z13computeKerneliiPKfPKbiiPfPi:        ; @_Z13computeKerneliiPKfPKbiiPfPi
; %bb.0:
	s_load_b128 s[4:7], s[0:1], 0x8
	v_mov_b32_e32 v1, 0
	s_get_pc_i64 s[2:3]
	s_add_nc_u64 s[2:3], s[2:3], __const._Z13computeKerneliiPKfPKbiiPfPi.parent@rel64+4
	s_mov_b32 s12, 0
	s_load_b128 s[8:11], s[2:3], 0x0
	s_mov_b32 s13, s12
	s_mov_b32 s14, s12
	;; [unrolled: 1-line block ×3, first 2 shown]
	v_mov_b64_e32 v[2:3], s[12:13]
	v_mov_b64_e32 v[4:5], s[14:15]
	s_wait_kmcnt 0x0
	global_load_u8 v6, v1, s[6:7]
	s_wait_loadcnt 0x0
	v_and_b32_e32 v10, 1, v6
	v_mov_b64_e32 v[6:7], s[8:9]
	v_mov_b64_e32 v[8:9], s[10:11]
	s_clause 0x7
	scratch_store_b32 off, v1, off offset:176
	scratch_store_b128 off, v[2:5], off offset:160
	scratch_store_b128 off, v[2:5], off offset:144
	;; [unrolled: 1-line block ×7, first 2 shown]
	v_cmp_eq_u32_e32 vcc_lo, 1, v10
	s_clause 0x5
	scratch_store_b128 off, v[2:5], off offset:48
	scratch_store_b128 off, v[2:5], off offset:32
	;; [unrolled: 1-line block ×3, first 2 shown]
	scratch_store_b128 off, v[2:5], off
	scratch_store_b128 off, v[6:9], off offset:192
	scratch_store_b32 off, v1, off offset:208
	s_cbranch_vccz .LBB1_2
; %bb.1:
	s_or_b32 s2, 0, 8
	s_mov_b32 s8, 2
	scratch_store_b32 off, v1, off offset:4
	s_load_u8 s3, s[6:7], 0x1
	s_wait_kmcnt 0x0
	s_cmp_eq_u32 s3, 0
	s_cbranch_scc0 .LBB1_3
	s_branch .LBB1_4
.LBB1_2:
	s_or_b32 s2, 0, 4
	s_mov_b32 s8, 1
	s_load_u8 s3, s[6:7], 0x1
	s_wait_kmcnt 0x0
	s_cmp_eq_u32 s3, 0
	s_cbranch_scc1 .LBB1_4
.LBB1_3:
	v_mov_b32_e32 v1, 1
	s_add_co_i32 s8, s8, 1
	scratch_store_b32 off, v1, s2
.LBB1_4:
	s_wait_xcnt 0x0
	s_load_u8 s2, s[6:7], 0x2
	s_wait_kmcnt 0x0
	s_cmp_eq_u32 s2, 0
	s_cbranch_scc0 .LBB1_161
; %bb.5:
	s_load_u8 s2, s[6:7], 0x3
	s_wait_kmcnt 0x0
	s_cmp_eq_u32 s2, 0
	s_cbranch_scc0 .LBB1_162
.LBB1_6:
	s_load_u8 s2, s[6:7], 0x4
	s_wait_kmcnt 0x0
	s_cmp_eq_u32 s2, 0
	s_cbranch_scc0 .LBB1_163
.LBB1_7:
	s_load_u8 s2, s[6:7], 0x5
	s_wait_kmcnt 0x0
	s_cmp_eq_u32 s2, 0
	s_cbranch_scc0 .LBB1_164
.LBB1_8:
	s_load_u8 s2, s[6:7], 0x6
	s_wait_kmcnt 0x0
	s_cmp_eq_u32 s2, 0
	s_cbranch_scc0 .LBB1_165
.LBB1_9:
	s_load_u8 s2, s[6:7], 0x7
	s_wait_kmcnt 0x0
	s_cmp_eq_u32 s2, 0
	s_cbranch_scc0 .LBB1_166
.LBB1_10:
	s_load_u8 s2, s[6:7], 0x8
	s_wait_kmcnt 0x0
	s_cmp_eq_u32 s2, 0
	s_cbranch_scc0 .LBB1_167
.LBB1_11:
	s_load_u8 s2, s[6:7], 0x9
	s_wait_kmcnt 0x0
	s_cmp_eq_u32 s2, 0
	s_cbranch_scc0 .LBB1_168
.LBB1_12:
	s_load_u8 s2, s[6:7], 0xa
	s_wait_kmcnt 0x0
	s_cmp_eq_u32 s2, 0
	s_cbranch_scc0 .LBB1_169
.LBB1_13:
	s_load_u8 s2, s[6:7], 0xb
	s_wait_kmcnt 0x0
	s_cmp_eq_u32 s2, 0
	s_cbranch_scc0 .LBB1_170
.LBB1_14:
	s_load_u8 s2, s[6:7], 0xc
	s_wait_kmcnt 0x0
	s_cmp_eq_u32 s2, 0
	s_cbranch_scc0 .LBB1_171
.LBB1_15:
	s_load_u8 s2, s[6:7], 0xd
	s_wait_kmcnt 0x0
	s_cmp_eq_u32 s2, 0
	s_cbranch_scc0 .LBB1_172
.LBB1_16:
	s_load_u8 s2, s[6:7], 0xe
	s_wait_kmcnt 0x0
	s_cmp_eq_u32 s2, 0
	s_cbranch_scc0 .LBB1_173
.LBB1_17:
	s_load_u8 s2, s[6:7], 0xf
	s_wait_kmcnt 0x0
	s_cmp_eq_u32 s2, 0
	s_cbranch_scc0 .LBB1_174
.LBB1_18:
	s_load_u8 s2, s[6:7], 0x10
	s_wait_kmcnt 0x0
	s_cmp_eq_u32 s2, 0
	s_cbranch_scc0 .LBB1_175
.LBB1_19:
	s_load_u8 s2, s[6:7], 0x11
	s_wait_kmcnt 0x0
	s_cmp_eq_u32 s2, 0
	s_cbranch_scc0 .LBB1_176
.LBB1_20:
	s_load_u8 s2, s[6:7], 0x12
	s_wait_kmcnt 0x0
	s_cmp_eq_u32 s2, 0
	s_cbranch_scc0 .LBB1_177
.LBB1_21:
	s_load_u8 s2, s[6:7], 0x13
	s_wait_kmcnt 0x0
	s_cmp_eq_u32 s2, 0
	s_cbranch_scc0 .LBB1_178
.LBB1_22:
	s_load_u8 s2, s[6:7], 0x14
	s_wait_kmcnt 0x0
	s_cmp_eq_u32 s2, 0
	s_cbranch_scc0 .LBB1_179
.LBB1_23:
	s_load_u8 s2, s[6:7], 0x15
	s_wait_kmcnt 0x0
	s_cmp_eq_u32 s2, 0
	s_cbranch_scc0 .LBB1_180
.LBB1_24:
	s_load_u8 s2, s[6:7], 0x16
	s_wait_kmcnt 0x0
	s_cmp_eq_u32 s2, 0
	s_cbranch_scc0 .LBB1_181
.LBB1_25:
	s_load_u8 s2, s[6:7], 0x17
	s_wait_kmcnt 0x0
	s_cmp_eq_u32 s2, 0
	s_cbranch_scc0 .LBB1_182
.LBB1_26:
	s_load_u8 s2, s[6:7], 0x18
	s_wait_kmcnt 0x0
	s_cmp_eq_u32 s2, 0
	s_cbranch_scc0 .LBB1_183
.LBB1_27:
	s_load_u8 s2, s[6:7], 0x19
	s_wait_kmcnt 0x0
	s_cmp_eq_u32 s2, 0
	s_cbranch_scc0 .LBB1_184
.LBB1_28:
	s_load_u8 s2, s[6:7], 0x1a
	s_wait_kmcnt 0x0
	s_cmp_eq_u32 s2, 0
	s_cbranch_scc0 .LBB1_185
.LBB1_29:
	s_load_u8 s2, s[6:7], 0x1b
	s_wait_kmcnt 0x0
	s_cmp_eq_u32 s2, 0
	s_cbranch_scc0 .LBB1_186
.LBB1_30:
	s_load_u8 s2, s[6:7], 0x1c
	s_wait_kmcnt 0x0
	s_cmp_eq_u32 s2, 0
	s_cbranch_scc0 .LBB1_187
.LBB1_31:
	s_load_u8 s2, s[6:7], 0x1d
	s_wait_kmcnt 0x0
	s_cmp_eq_u32 s2, 0
	s_cbranch_scc0 .LBB1_188
.LBB1_32:
	s_load_u8 s2, s[6:7], 0x1e
	s_wait_kmcnt 0x0
	s_cmp_eq_u32 s2, 0
	s_cbranch_scc0 .LBB1_189
.LBB1_33:
	s_load_u8 s2, s[6:7], 0x1f
	s_wait_kmcnt 0x0
	s_cmp_eq_u32 s2, 0
	s_cbranch_scc0 .LBB1_190
.LBB1_34:
	s_load_u8 s2, s[6:7], 0x20
	s_wait_kmcnt 0x0
	s_cmp_eq_u32 s2, 0
	s_cbranch_scc0 .LBB1_191
.LBB1_35:
	s_load_u8 s2, s[6:7], 0x21
	s_wait_kmcnt 0x0
	s_cmp_eq_u32 s2, 0
	s_cbranch_scc0 .LBB1_192
.LBB1_36:
	s_load_u8 s2, s[6:7], 0x22
	s_wait_kmcnt 0x0
	s_cmp_eq_u32 s2, 0
	s_cbranch_scc0 .LBB1_193
.LBB1_37:
	s_load_u8 s2, s[6:7], 0x23
	s_wait_kmcnt 0x0
	s_cmp_eq_u32 s2, 0
	s_cbranch_scc0 .LBB1_194
.LBB1_38:
	s_load_u8 s2, s[6:7], 0x24
	s_wait_kmcnt 0x0
	s_cmp_eq_u32 s2, 0
	s_cbranch_scc0 .LBB1_195
.LBB1_39:
	s_load_u8 s2, s[6:7], 0x25
	s_wait_kmcnt 0x0
	s_cmp_eq_u32 s2, 0
	s_cbranch_scc0 .LBB1_196
.LBB1_40:
	s_load_u8 s2, s[6:7], 0x26
	s_wait_kmcnt 0x0
	s_cmp_eq_u32 s2, 0
	s_cbranch_scc0 .LBB1_197
.LBB1_41:
	s_load_u8 s2, s[6:7], 0x27
	s_wait_kmcnt 0x0
	s_cmp_eq_u32 s2, 0
	s_cbranch_scc0 .LBB1_198
.LBB1_42:
	s_load_u8 s2, s[6:7], 0x28
	s_wait_kmcnt 0x0
	s_cmp_eq_u32 s2, 0
	s_cbranch_scc0 .LBB1_199
.LBB1_43:
	s_load_u8 s2, s[6:7], 0x29
	s_wait_kmcnt 0x0
	s_cmp_eq_u32 s2, 0
	s_cbranch_scc0 .LBB1_200
.LBB1_44:
	s_load_u8 s2, s[6:7], 0x2a
	s_wait_kmcnt 0x0
	s_cmp_eq_u32 s2, 0
	s_cbranch_scc0 .LBB1_201
.LBB1_45:
	s_load_u8 s2, s[6:7], 0x2b
	s_wait_kmcnt 0x0
	s_cmp_eq_u32 s2, 0
	s_cbranch_scc0 .LBB1_202
.LBB1_46:
	s_load_u8 s2, s[6:7], 0x2c
	s_wait_kmcnt 0x0
	s_cmp_eq_u32 s2, 0
	s_cbranch_scc1 .LBB1_48
.LBB1_47:
	v_mov_b32_e32 v1, 44
	s_lshl_b32 s2, s8, 2
	s_add_co_i32 s8, s8, 1
	scratch_store_b32 off, v1, s2
.LBB1_48:
	s_load_b64 s[6:7], s[0:1], 0x0
	s_bfe_u32 s2, ttmp6, 0x4000c
	s_and_b32 s3, ttmp6, 15
	s_add_co_i32 s2, s2, 1
	s_getreg_b32 s9, hwreg(HW_REG_IB_STS2, 6, 4)
	s_mul_i32 s2, ttmp9, s2
	s_delay_alu instid0(SALU_CYCLE_1)
	s_add_co_i32 s3, s3, s2
	s_cmp_eq_u32 s9, 0
	s_cselect_b32 s16, ttmp9, s3
	s_wait_kmcnt 0x0
	s_cmp_gt_i32 s6, 0
	s_cbranch_scc0 .LBB1_203
; %bb.49:
	s_load_b64 s[10:11], s[0:1], 0x18
	v_lshl_add_u32 v1, s16, 8, v0
	v_or_b32_e64 v15, 0xc0, 4
	v_or_b32_e64 v16, 0xc0, 8
	;; [unrolled: 1-line block ×3, first 2 shown]
	v_dual_mov_b32 v18, 0xd0 :: v_dual_mov_b32 v3, 0
	v_mul_lo_u32 v19, v1, s6
	v_dual_mov_b32 v14, 0xd8635fa9 :: v_dual_mov_b32 v5, 0
	v_dual_mov_b32 v2, 0 :: v_dual_mov_b32 v4, 0
	v_mov_b32_e32 v6, -1
	s_add_co_i32 s9, s8, -1
	s_movk_i32 s17, 0xbc
	s_mov_b32 s18, 0
	s_mov_b32 s19, 0
                                        ; implicit-def: $sgpr20
	s_wait_kmcnt 0x0
	s_mul_i32 s7, s10, s7
	s_branch .LBB1_52
.LBB1_50:                               ;   in Loop: Header=BB1_52 Depth=1
	s_wait_xcnt 0x0
	s_or_b32 exec_lo, exec_lo, s2
	v_add_nc_u32_e32 v1, s7, v1
	s_add_co_i32 s19, s19, 1
	global_load_b32 v1, v1, s[4:5] scale_offset
	scratch_load_b128 v[8:11], off, off offset:196
	s_cmp_eq_u32 s19, s6
	s_cselect_b32 s2, -1, 0
	s_and_not1_b32 s3, s20, exec_lo
	s_and_b32 s2, s2, exec_lo
	s_delay_alu instid0(SALU_CYCLE_1)
	s_or_b32 s20, s3, s2
	s_wait_loadcnt 0x1
	v_cmp_gt_f32_e32 vcc_lo, v1, v14
	s_wait_loadcnt 0x0
	v_dual_cndmask_b32 v14, v14, v1, vcc_lo :: v_dual_cndmask_b32 v4, v4, v10, vcc_lo
	v_dual_cndmask_b32 v2, v2, v8 :: v_dual_cndmask_b32 v3, v3, v9
	v_cndmask_b32_e32 v5, v5, v11, vcc_lo
.LBB1_51:                               ;   in Loop: Header=BB1_52 Depth=1
	s_wait_xcnt 0x0
	s_or_b32 exec_lo, exec_lo, s21
	s_delay_alu instid0(SALU_CYCLE_1) | instskip(NEXT) | instid1(SALU_CYCLE_1)
	s_and_b32 s2, exec_lo, s20
	s_or_b32 s18, s2, s18
	s_delay_alu instid0(SALU_CYCLE_1)
	s_and_not1_b32 exec_lo, exec_lo, s18
	s_cbranch_execz .LBB1_160
.LBB1_52:                               ; =>This Loop Header: Depth=1
                                        ;     Child Loop BB1_56 Depth 2
                                        ;       Child Loop BB1_58 Depth 3
                                        ;       Child Loop BB1_61 Depth 3
	;; [unrolled: 1-line block ×3, first 2 shown]
                                        ;     Child Loop BB1_69 Depth 2
                                        ;     Child Loop BB1_73 Depth 2
	;; [unrolled: 1-line block ×4, first 2 shown]
                                        ;       Child Loop BB1_84 Depth 3
                                        ;         Child Loop BB1_86 Depth 4
                                        ;         Child Loop BB1_90 Depth 4
	;; [unrolled: 1-line block ×3, first 2 shown]
                                        ;       Child Loop BB1_98 Depth 3
                                        ;       Child Loop BB1_102 Depth 3
	;; [unrolled: 1-line block ×3, first 2 shown]
                                        ;     Child Loop BB1_111 Depth 2
                                        ;     Child Loop BB1_126 Depth 2
	;; [unrolled: 1-line block ×3, first 2 shown]
                                        ;       Child Loop BB1_131 Depth 3
                                        ;       Child Loop BB1_134 Depth 3
	;; [unrolled: 1-line block ×3, first 2 shown]
                                        ;     Child Loop BB1_142 Depth 2
                                        ;       Child Loop BB1_144 Depth 3
                                        ;         Child Loop BB1_146 Depth 4
                                        ;         Child Loop BB1_150 Depth 4
	;; [unrolled: 1-line block ×3, first 2 shown]
	v_add_nc_u32_e32 v10, s19, v19
	s_or_b32 s20, s20, exec_lo
	s_mov_b32 s21, exec_lo
	s_delay_alu instid0(VALU_DEP_1)
	v_cmpx_gt_u32_e64 s11, v10
	s_cbranch_execz .LBB1_51
; %bb.53:                               ;   in Loop: Header=BB1_52 Depth=1
	s_mov_b32 s2, exec_lo
	v_cmpx_ne_u32_e32 0, v10
	s_xor_b32 s22, exec_lo, s2
	s_cbranch_execz .LBB1_116
; %bb.54:                               ;   in Loop: Header=BB1_52 Depth=1
	v_dual_mov_b32 v11, 0 :: v_dual_mov_b32 v1, 1
	s_mov_b32 s12, exec_lo
	v_cmpx_lt_i32_e32 0, v10
	s_cbranch_execz .LBB1_66
; %bb.55:                               ;   in Loop: Header=BB1_52 Depth=1
	s_mov_b32 s14, 1
	s_mov_b32 s13, 0
	;; [unrolled: 1-line block ×3, first 2 shown]
.LBB1_56:                               ;   Parent Loop BB1_52 Depth=1
                                        ; =>  This Loop Header: Depth=2
                                        ;       Child Loop BB1_58 Depth 3
                                        ;       Child Loop BB1_61 Depth 3
	;; [unrolled: 1-line block ×3, first 2 shown]
	s_mov_b32 s24, -1
	s_cmp_lt_u32 s14, 2
	s_mov_b32 s3, 0
	s_mov_b32 s2, 1
	;; [unrolled: 1-line block ×3, first 2 shown]
	s_cbranch_scc1 .LBB1_60
; %bb.57:                               ;   in Loop: Header=BB1_56 Depth=2
	s_and_b32 s23, s14, -2
	s_mov_b32 s24, 1
	s_mov_b64 s[2:3], s[8:9]
	s_mov_b32 s25, 1
.LBB1_58:                               ;   Parent Loop BB1_52 Depth=1
                                        ;     Parent Loop BB1_56 Depth=2
                                        ; =>    This Inner Loop Header: Depth=3
	s_add_co_i32 s23, s23, -2
	s_mul_i32 s25, s25, s3
	s_mul_i32 s24, s24, s2
	s_add_co_i32 s3, s3, -2
	s_add_co_i32 s2, s2, -2
	s_cmp_lg_u32 s23, 0
	s_cbranch_scc1 .LBB1_58
; %bb.59:                               ;   in Loop: Header=BB1_56 Depth=2
	s_and_b32 s3, s14, 0x7ffffffe
	s_mul_i32 s2, s24, s25
	s_sub_co_i32 s23, s8, s3
	s_cmp_lg_u32 s14, s3
	s_cselect_b32 s24, -1, 0
.LBB1_60:                               ;   in Loop: Header=BB1_56 Depth=2
	s_delay_alu instid0(SALU_CYCLE_1)
	s_and_b32 vcc_lo, exec_lo, s24
	s_cbranch_vccz .LBB1_62
.LBB1_61:                               ;   Parent Loop BB1_52 Depth=1
                                        ;     Parent Loop BB1_56 Depth=2
                                        ; =>    This Inner Loop Header: Depth=3
	s_add_co_i32 s3, s3, 1
	s_mul_i32 s2, s2, s23
	s_add_co_i32 s23, s23, -1
	s_cmp_lg_u32 s14, s3
	s_cbranch_scc1 .LBB1_61
.LBB1_62:                               ;   in Loop: Header=BB1_56 Depth=2
	s_mov_b32 s3, s14
.LBB1_63:                               ;   Parent Loop BB1_52 Depth=1
                                        ;     Parent Loop BB1_56 Depth=2
                                        ; =>    This Inner Loop Header: Depth=3
	s_delay_alu instid0(SALU_CYCLE_1) | instskip(SKIP_4) | instid1(SALU_CYCLE_1)
	s_abs_i32 s23, s3
	s_abs_i32 s26, s2
	s_cvt_f32_u32 s24, s23
	s_sub_co_i32 s25, 0, s23
	s_xor_b32 s2, s2, s3
	s_ashr_i32 s2, s2, 31
	v_rcp_iflag_f32_e32 v1, s24
	v_nop
	s_delay_alu instid0(TRANS32_DEP_1) | instskip(SKIP_1) | instid1(SALU_CYCLE_3)
	v_readfirstlane_b32 s24, v1
	s_mul_f32 s24, s24, 0x4f7ffffe
	s_cvt_u32_f32 s24, s24
	s_delay_alu instid0(SALU_CYCLE_3) | instskip(NEXT) | instid1(SALU_CYCLE_1)
	s_mul_i32 s25, s25, s24
	s_mul_hi_u32 s25, s24, s25
	s_delay_alu instid0(SALU_CYCLE_1) | instskip(NEXT) | instid1(SALU_CYCLE_1)
	s_add_co_i32 s24, s24, s25
	s_mul_hi_u32 s24, s26, s24
	s_delay_alu instid0(SALU_CYCLE_1) | instskip(NEXT) | instid1(SALU_CYCLE_1)
	s_mul_i32 s25, s24, s23
	s_sub_co_i32 s25, s26, s25
	s_add_co_i32 s26, s24, 1
	s_sub_co_i32 s27, s25, s23
	s_cmp_ge_u32 s25, s23
	s_cselect_b32 s24, s26, s24
	s_cselect_b32 s25, s27, s25
	s_add_co_i32 s26, s24, 1
	s_cmp_ge_u32 s25, s23
	s_cselect_b32 s23, s26, s24
	s_add_co_i32 s3, s3, -1
	s_xor_b32 s23, s23, s2
	s_delay_alu instid0(SALU_CYCLE_1)
	s_sub_co_i32 s2, s23, s2
	s_cmp_lg_u32 s3, 0
	s_cbranch_scc1 .LBB1_63
; %bb.64:                               ;   in Loop: Header=BB1_56 Depth=2
	s_add_co_i32 s15, s2, s15
	s_add_co_i32 s14, s14, 1
	v_cmp_ge_i32_e32 vcc_lo, s15, v10
	v_dual_mov_b32 v1, s14 :: v_dual_mov_b32 v11, s15
	s_or_b32 s13, vcc_lo, s13
	s_delay_alu instid0(SALU_CYCLE_1)
	s_and_not1_b32 exec_lo, exec_lo, s13
	s_cbranch_execnz .LBB1_56
; %bb.65:                               ;   in Loop: Header=BB1_52 Depth=1
	s_or_b32 exec_lo, exec_lo, s13
.LBB1_66:                               ;   in Loop: Header=BB1_52 Depth=1
	s_delay_alu instid0(SALU_CYCLE_1)
	s_or_b32 exec_lo, exec_lo, s12
	v_dual_mov_b32 v8, 1 :: v_dual_add_nc_u32 v7, -1, v1
	v_cmp_lt_u32_e32 vcc_lo, 1, v1
	s_and_saveexec_b32 s3, vcc_lo
	s_cbranch_execz .LBB1_76
; %bb.67:                               ;   in Loop: Header=BB1_52 Depth=1
	v_dual_mov_b32 v8, 1 :: v_dual_mov_b32 v12, 0
	v_mov_b32_e32 v9, s8
	s_mov_b32 s13, -1
	s_mov_b32 s23, exec_lo
	v_cmpx_ne_u32_e32 2, v1
	s_cbranch_execz .LBB1_71
; %bb.68:                               ;   in Loop: Header=BB1_52 Depth=1
	v_and_b32_e32 v12, -2, v7
	s_mov_b32 s12, 1
	s_mov_b32 s24, 0
	s_mov_b64 s[14:15], s[8:9]
	s_mov_b32 s13, s12
	v_mov_b32_e32 v13, v12
.LBB1_69:                               ;   Parent Loop BB1_52 Depth=1
                                        ; =>  This Inner Loop Header: Depth=2
	s_delay_alu instid0(VALU_DEP_1)
	v_add_nc_u32_e32 v13, -2, v13
	s_mul_i32 s13, s13, s15
	s_mul_i32 s12, s12, s14
	s_add_co_i32 s15, s15, -2
	v_mov_b64_e32 v[8:9], s[12:13]
	v_cmp_eq_u32_e64 s2, 0, v13
	s_add_co_i32 s14, s14, -2
	s_or_b32 s24, s2, s24
	s_delay_alu instid0(SALU_CYCLE_1)
	s_and_not1_b32 exec_lo, exec_lo, s24
	s_cbranch_execnz .LBB1_69
; %bb.70:                               ;   in Loop: Header=BB1_52 Depth=1
	s_or_b32 exec_lo, exec_lo, s24
	v_mul_lo_u32 v8, v8, v9
	v_cmp_ne_u32_e64 s2, v7, v12
	v_sub_nc_u32_e32 v9, s8, v12
	s_or_not1_b32 s13, s2, exec_lo
.LBB1_71:                               ;   in Loop: Header=BB1_52 Depth=1
	s_or_b32 exec_lo, exec_lo, s23
	s_and_saveexec_b32 s12, s13
	s_cbranch_execz .LBB1_75
; %bb.72:                               ;   in Loop: Header=BB1_52 Depth=1
	v_sub_nc_u32_e32 v12, v7, v12
	s_mov_b32 s13, 0
.LBB1_73:                               ;   Parent Loop BB1_52 Depth=1
                                        ; =>  This Inner Loop Header: Depth=2
	s_delay_alu instid0(VALU_DEP_1) | instskip(SKIP_2) | instid1(VALU_DEP_3)
	v_add_nc_u32_e32 v12, -1, v12
	v_mul_lo_u32 v8, v8, v9
	v_add_nc_u32_e32 v9, -1, v9
	v_cmp_eq_u32_e64 s2, 0, v12
	s_or_b32 s13, s2, s13
	s_delay_alu instid0(SALU_CYCLE_1)
	s_and_not1_b32 exec_lo, exec_lo, s13
	s_cbranch_execnz .LBB1_73
; %bb.74:                               ;   in Loop: Header=BB1_52 Depth=1
	s_or_b32 exec_lo, exec_lo, s13
.LBB1_75:                               ;   in Loop: Header=BB1_52 Depth=1
	s_delay_alu instid0(SALU_CYCLE_1)
	s_or_b32 exec_lo, exec_lo, s12
.LBB1_76:                               ;   in Loop: Header=BB1_52 Depth=1
	s_delay_alu instid0(SALU_CYCLE_1)
	s_or_b32 exec_lo, exec_lo, s3
	s_and_saveexec_b32 s2, vcc_lo
	s_cbranch_execz .LBB1_80
; %bb.77:                               ;   in Loop: Header=BB1_52 Depth=1
	v_mov_b32_e32 v9, v7
	s_mov_b32 s3, 0
.LBB1_78:                               ;   Parent Loop BB1_52 Depth=1
                                        ; =>  This Inner Loop Header: Depth=2
	s_delay_alu instid0(VALU_DEP_1) | instskip(NEXT) | instid1(VALU_DEP_1)
	v_dual_sub_nc_u32 v12, 0, v9 :: v_dual_sub_nc_u32 v21, 0, v8
	v_max_i32_e32 v12, v9, v12
	s_delay_alu instid0(VALU_DEP_2) | instskip(SKIP_1) | instid1(VALU_DEP_3)
	v_max_i32_e32 v21, v8, v21
	v_xor_b32_e32 v8, v8, v9
	v_cvt_f32_u32_e32 v13, v12
	s_delay_alu instid0(VALU_DEP_2) | instskip(NEXT) | instid1(VALU_DEP_2)
	v_ashrrev_i32_e32 v8, 31, v8
	v_rcp_iflag_f32_e32 v13, v13
	v_nop
	s_delay_alu instid0(TRANS32_DEP_1) | instskip(NEXT) | instid1(VALU_DEP_1)
	v_dual_mul_f32 v13, 0x4f7ffffe, v13 :: v_dual_sub_nc_u32 v20, 0, v12
	v_cvt_u32_f32_e32 v13, v13
	s_delay_alu instid0(VALU_DEP_1) | instskip(NEXT) | instid1(VALU_DEP_1)
	v_mul_lo_u32 v20, v20, v13
	v_mul_hi_u32 v20, v13, v20
	s_delay_alu instid0(VALU_DEP_1) | instskip(NEXT) | instid1(VALU_DEP_1)
	v_add_nc_u32_e32 v13, v13, v20
	v_mul_hi_u32 v13, v21, v13
	s_delay_alu instid0(VALU_DEP_1) | instskip(NEXT) | instid1(VALU_DEP_1)
	v_mul_lo_u32 v20, v13, v12
	v_dual_add_nc_u32 v22, 1, v13 :: v_dual_sub_nc_u32 v20, v21, v20
	s_delay_alu instid0(VALU_DEP_1) | instskip(NEXT) | instid1(VALU_DEP_2)
	v_cmp_ge_u32_e32 vcc_lo, v20, v12
	v_dual_sub_nc_u32 v21, v20, v12 :: v_dual_cndmask_b32 v13, v13, v22, vcc_lo
	s_delay_alu instid0(VALU_DEP_1) | instskip(NEXT) | instid1(VALU_DEP_2)
	v_cndmask_b32_e32 v20, v20, v21, vcc_lo
	v_add_nc_u32_e32 v21, 1, v13
	s_delay_alu instid0(VALU_DEP_2) | instskip(NEXT) | instid1(VALU_DEP_2)
	v_cmp_ge_u32_e32 vcc_lo, v20, v12
	v_cndmask_b32_e32 v12, v13, v21, vcc_lo
	s_delay_alu instid0(VALU_DEP_1) | instskip(NEXT) | instid1(VALU_DEP_1)
	v_dual_add_nc_u32 v9, -1, v9 :: v_dual_bitop2_b32 v12, v12, v8 bitop3:0x14
	v_sub_nc_u32_e32 v8, v12, v8
	s_delay_alu instid0(VALU_DEP_2) | instskip(SKIP_1) | instid1(SALU_CYCLE_1)
	v_cmp_eq_u32_e32 vcc_lo, 0, v9
	s_or_b32 s3, vcc_lo, s3
	s_and_not1_b32 exec_lo, exec_lo, s3
	s_cbranch_execnz .LBB1_78
; %bb.79:                               ;   in Loop: Header=BB1_52 Depth=1
	s_or_b32 exec_lo, exec_lo, s3
.LBB1_80:                               ;   in Loop: Header=BB1_52 Depth=1
	s_delay_alu instid0(SALU_CYCLE_1) | instskip(SKIP_2) | instid1(VALU_DEP_1)
	s_or_b32 exec_lo, exec_lo, s2
	v_dual_mov_b32 v20, 0 :: v_dual_sub_nc_u32 v9, v10, v11
	s_mov_b32 s12, exec_lo
	v_dual_mov_b32 v21, 0 :: v_dual_add_nc_u32 v22, v8, v9
	v_cmpx_lt_i32_e32 2, v1
	s_cbranch_execz .LBB1_108
; %bb.81:                               ;   in Loop: Header=BB1_52 Depth=1
	v_dual_mov_b32 v21, 0 :: v_dual_add_nc_u32 v20, -2, v1
	v_mov_b32_e32 v8, s8
	s_mov_b32 s13, 0
	s_mov_b32 s14, 0
	s_delay_alu instid0(VALU_DEP_2)
	v_mov_b32_e32 v23, v20
.LBB1_82:                               ;   Parent Loop BB1_52 Depth=1
                                        ; =>  This Loop Header: Depth=2
                                        ;       Child Loop BB1_84 Depth 3
                                        ;         Child Loop BB1_86 Depth 4
                                        ;         Child Loop BB1_90 Depth 4
	;; [unrolled: 1-line block ×3, first 2 shown]
                                        ;       Child Loop BB1_98 Depth 3
                                        ;       Child Loop BB1_102 Depth 3
	;; [unrolled: 1-line block ×3, first 2 shown]
	v_subrev_nc_u32_e32 v25, s14, v20
	s_delay_alu instid0(VALU_DEP_2) | instskip(SKIP_1) | instid1(VALU_DEP_3)
	v_dual_mov_b32 v12, 0 :: v_dual_bitop2_b32 v27, -2, v23 bitop3:0x40
	v_dual_mov_b32 v24, 0 :: v_dual_add_nc_u32 v7, -1, v7
	v_and_b32_e32 v26, -2, v25
	s_mov_b32 s15, exec_lo
	v_cmpx_lt_i32_e32 0, v22
	s_cbranch_execz .LBB1_96
; %bb.83:                               ;   in Loop: Header=BB1_82 Depth=2
	v_dual_mov_b32 v24, 0 :: v_dual_bitop2_b32 v9, -2, v25 bitop3:0x40
	s_mov_b32 s24, 1
	s_mov_b32 s23, 0
	v_cmp_lt_u32_e32 vcc_lo, 1, v25
	s_delay_alu instid0(VALU_DEP_2)
	v_cmp_ne_u32_e64 s2, v25, v9
.LBB1_84:                               ;   Parent Loop BB1_52 Depth=1
                                        ;     Parent Loop BB1_82 Depth=2
                                        ; =>    This Loop Header: Depth=3
                                        ;         Child Loop BB1_86 Depth 4
                                        ;         Child Loop BB1_90 Depth 4
	;; [unrolled: 1-line block ×3, first 2 shown]
	v_subrev_nc_u32_e32 v10, s24, v8
	v_dual_mov_b32 v11, 1 :: v_dual_mov_b32 v12, 0
	s_mov_b32 s3, -1
	s_and_saveexec_b32 s25, vcc_lo
	s_cbranch_execz .LBB1_88
; %bb.85:                               ;   in Loop: Header=BB1_84 Depth=3
	v_dual_mov_b32 v28, 1 :: v_dual_add_nc_u32 v11, -1, v10
	v_mov_b32_e32 v29, v27
	s_mov_b32 s26, 0
	s_delay_alu instid0(VALU_DEP_2)
	v_mov_b64_e32 v[12:13], v[10:11]
	v_mov_b32_e32 v11, 1
.LBB1_86:                               ;   Parent Loop BB1_52 Depth=1
                                        ;     Parent Loop BB1_82 Depth=2
                                        ;       Parent Loop BB1_84 Depth=3
                                        ; =>      This Inner Loop Header: Depth=4
	s_delay_alu instid0(VALU_DEP_3) | instskip(NEXT) | instid1(VALU_DEP_2)
	v_add_nc_u32_e32 v29, -2, v29
	v_mul_lo_u32 v11, v11, v13
	s_delay_alu instid0(VALU_DEP_4) | instskip(SKIP_1) | instid1(VALU_DEP_4)
	v_mul_lo_u32 v28, v28, v12
	v_dual_add_nc_u32 v12, -2, v12 :: v_dual_add_nc_u32 v13, -2, v13
	v_cmp_eq_u32_e64 s3, 0, v29
	s_or_b32 s26, s3, s26
	s_delay_alu instid0(SALU_CYCLE_1)
	s_and_not1_b32 exec_lo, exec_lo, s26
	s_cbranch_execnz .LBB1_86
; %bb.87:                               ;   in Loop: Header=BB1_84 Depth=3
	s_or_b32 exec_lo, exec_lo, s26
	v_mul_lo_u32 v11, v28, v11
	v_dual_sub_nc_u32 v10, v10, v9 :: v_dual_mov_b32 v12, v9
	s_or_not1_b32 s3, s2, exec_lo
.LBB1_88:                               ;   in Loop: Header=BB1_84 Depth=3
	s_or_b32 exec_lo, exec_lo, s25
	s_and_saveexec_b32 s25, s3
	s_cbranch_execz .LBB1_92
; %bb.89:                               ;   in Loop: Header=BB1_84 Depth=3
	s_mov_b32 s26, 0
.LBB1_90:                               ;   Parent Loop BB1_52 Depth=1
                                        ;     Parent Loop BB1_82 Depth=2
                                        ;       Parent Loop BB1_84 Depth=3
                                        ; =>      This Inner Loop Header: Depth=4
	v_add_nc_u32_e32 v12, 1, v12
	s_delay_alu instid0(VALU_DEP_2) | instskip(SKIP_1) | instid1(VALU_DEP_3)
	v_mul_lo_u32 v11, v11, v10
	v_add_nc_u32_e32 v10, -1, v10
	v_cmp_eq_u32_e64 s3, v23, v12
	s_or_b32 s26, s3, s26
	s_delay_alu instid0(SALU_CYCLE_1)
	s_and_not1_b32 exec_lo, exec_lo, s26
	s_cbranch_execnz .LBB1_90
; %bb.91:                               ;   in Loop: Header=BB1_84 Depth=3
	s_or_b32 exec_lo, exec_lo, s26
.LBB1_92:                               ;   in Loop: Header=BB1_84 Depth=3
	s_delay_alu instid0(SALU_CYCLE_1)
	s_or_b32 exec_lo, exec_lo, s25
	v_mov_b32_e32 v10, v7
	s_mov_b32 s25, 0
.LBB1_93:                               ;   Parent Loop BB1_52 Depth=1
                                        ;     Parent Loop BB1_82 Depth=2
                                        ;       Parent Loop BB1_84 Depth=3
                                        ; =>      This Inner Loop Header: Depth=4
	s_delay_alu instid0(VALU_DEP_1) | instskip(NEXT) | instid1(VALU_DEP_1)
	v_dual_sub_nc_u32 v12, 0, v10 :: v_dual_sub_nc_u32 v29, 0, v11
	v_max_i32_e32 v12, v10, v12
	s_delay_alu instid0(VALU_DEP_2) | instskip(SKIP_1) | instid1(VALU_DEP_3)
	v_max_i32_e32 v29, v11, v29
	v_dual_add_nc_u32 v10, -1, v10 :: v_dual_bitop2_b32 v11, v11, v10 bitop3:0x14
	v_cvt_f32_u32_e32 v13, v12
	s_delay_alu instid0(VALU_DEP_2) | instskip(NEXT) | instid1(VALU_DEP_2)
	v_dual_sub_nc_u32 v28, 0, v12 :: v_dual_ashrrev_i32 v11, 31, v11
	v_rcp_iflag_f32_e32 v13, v13
	v_nop
	s_delay_alu instid0(TRANS32_DEP_1) | instskip(NEXT) | instid1(VALU_DEP_1)
	v_mul_f32_e32 v13, 0x4f7ffffe, v13
	v_cvt_u32_f32_e32 v13, v13
	s_delay_alu instid0(VALU_DEP_1) | instskip(NEXT) | instid1(VALU_DEP_1)
	v_mul_lo_u32 v28, v28, v13
	v_mul_hi_u32 v28, v13, v28
	s_delay_alu instid0(VALU_DEP_1) | instskip(NEXT) | instid1(VALU_DEP_1)
	v_add_nc_u32_e32 v13, v13, v28
	v_mul_hi_u32 v13, v29, v13
	s_delay_alu instid0(VALU_DEP_1) | instskip(NEXT) | instid1(VALU_DEP_1)
	v_mul_lo_u32 v28, v13, v12
	v_dual_add_nc_u32 v30, 1, v13 :: v_dual_sub_nc_u32 v28, v29, v28
	s_delay_alu instid0(VALU_DEP_1) | instskip(NEXT) | instid1(VALU_DEP_1)
	v_cmp_ge_u32_e64 s3, v28, v12
	v_dual_sub_nc_u32 v29, v28, v12 :: v_dual_cndmask_b32 v13, v13, v30, s3
	s_delay_alu instid0(VALU_DEP_1) | instskip(NEXT) | instid1(VALU_DEP_2)
	v_cndmask_b32_e64 v28, v28, v29, s3
	v_add_nc_u32_e32 v29, 1, v13
	s_delay_alu instid0(VALU_DEP_2) | instskip(NEXT) | instid1(VALU_DEP_1)
	v_cmp_ge_u32_e64 s3, v28, v12
	v_cndmask_b32_e64 v12, v13, v29, s3
	v_cmp_eq_u32_e64 s3, 0, v10
	s_delay_alu instid0(VALU_DEP_2) | instskip(SKIP_1) | instid1(VALU_DEP_1)
	v_xor_b32_e32 v12, v12, v11
	s_or_b32 s25, s3, s25
	v_sub_nc_u32_e32 v11, v12, v11
	s_and_not1_b32 exec_lo, exec_lo, s25
	s_cbranch_execnz .LBB1_93
; %bb.94:                               ;   in Loop: Header=BB1_84 Depth=3
	s_or_b32 exec_lo, exec_lo, s25
	s_delay_alu instid0(VALU_DEP_1) | instskip(SKIP_1) | instid1(VALU_DEP_1)
	v_dual_add_nc_u32 v24, v11, v24 :: v_dual_mov_b32 v12, s24
	s_add_co_i32 s24, s24, 1
	v_cmp_ge_i32_e64 s3, v24, v22
	s_or_b32 s23, s3, s23
	s_delay_alu instid0(SALU_CYCLE_1)
	s_and_not1_b32 exec_lo, exec_lo, s23
	s_cbranch_execnz .LBB1_84
; %bb.95:                               ;   in Loop: Header=BB1_82 Depth=2
	s_or_b32 exec_lo, exec_lo, s23
.LBB1_96:                               ;   in Loop: Header=BB1_82 Depth=2
	s_delay_alu instid0(SALU_CYCLE_1) | instskip(SKIP_4) | instid1(VALU_DEP_2)
	s_or_b32 exec_lo, exec_lo, s15
	v_dual_mov_b32 v9, 1 :: v_dual_sub_nc_u32 v8, v8, v12
	v_mov_b32_e32 v10, 0
	s_mov_b32 s3, -1
	s_mov_b32 s2, exec_lo
	v_mov_b32_e32 v11, v8
	v_cmpx_lt_u32_e32 1, v25
	s_cbranch_execz .LBB1_100
; %bb.97:                               ;   in Loop: Header=BB1_82 Depth=2
	v_dual_add_nc_u32 v9, -1, v8 :: v_dual_mov_b32 v13, 1
	s_mov_b32 s3, 0
	s_delay_alu instid0(VALU_DEP_1)
	v_mov_b64_e32 v[10:11], v[8:9]
	v_mov_b32_e32 v9, 1
.LBB1_98:                               ;   Parent Loop BB1_52 Depth=1
                                        ;     Parent Loop BB1_82 Depth=2
                                        ; =>    This Inner Loop Header: Depth=3
	v_add_nc_u32_e32 v27, -2, v27
	s_delay_alu instid0(VALU_DEP_2) | instskip(NEXT) | instid1(VALU_DEP_4)
	v_mul_lo_u32 v9, v9, v11
	v_mul_lo_u32 v13, v13, v10
	v_dual_add_nc_u32 v10, -2, v10 :: v_dual_add_nc_u32 v11, -2, v11
	s_delay_alu instid0(VALU_DEP_4) | instskip(SKIP_1) | instid1(SALU_CYCLE_1)
	v_cmp_eq_u32_e32 vcc_lo, 0, v27
	s_or_b32 s3, vcc_lo, s3
	s_and_not1_b32 exec_lo, exec_lo, s3
	s_cbranch_execnz .LBB1_98
; %bb.99:                               ;   in Loop: Header=BB1_82 Depth=2
	s_or_b32 exec_lo, exec_lo, s3
	s_delay_alu instid0(VALU_DEP_3)
	v_mul_lo_u32 v9, v13, v9
	v_cmp_ne_u32_e32 vcc_lo, v25, v26
	v_dual_mov_b32 v10, v26 :: v_dual_sub_nc_u32 v11, v8, v26
	s_or_not1_b32 s3, vcc_lo, exec_lo
.LBB1_100:                              ;   in Loop: Header=BB1_82 Depth=2
	s_or_b32 exec_lo, exec_lo, s2
	s_and_saveexec_b32 s2, s3
	s_cbranch_execz .LBB1_104
; %bb.101:                              ;   in Loop: Header=BB1_82 Depth=2
	s_mov_b32 s3, 0
.LBB1_102:                              ;   Parent Loop BB1_52 Depth=1
                                        ;     Parent Loop BB1_82 Depth=2
                                        ; =>    This Inner Loop Header: Depth=3
	v_add_nc_u32_e32 v10, 1, v10
	s_delay_alu instid0(VALU_DEP_4) | instskip(SKIP_1) | instid1(VALU_DEP_3)
	v_mul_lo_u32 v9, v9, v11
	v_add_nc_u32_e32 v11, -1, v11
	v_cmp_eq_u32_e32 vcc_lo, v23, v10
	s_or_b32 s3, vcc_lo, s3
	s_delay_alu instid0(SALU_CYCLE_1)
	s_and_not1_b32 exec_lo, exec_lo, s3
	s_cbranch_execnz .LBB1_102
; %bb.103:                              ;   in Loop: Header=BB1_82 Depth=2
	s_or_b32 exec_lo, exec_lo, s3
.LBB1_104:                              ;   in Loop: Header=BB1_82 Depth=2
	s_delay_alu instid0(SALU_CYCLE_1)
	s_or_b32 exec_lo, exec_lo, s2
	v_mov_b32_e32 v10, v7
	s_mov_b32 s2, 0
.LBB1_105:                              ;   Parent Loop BB1_52 Depth=1
                                        ;     Parent Loop BB1_82 Depth=2
                                        ; =>    This Inner Loop Header: Depth=3
	s_delay_alu instid0(VALU_DEP_1) | instskip(NEXT) | instid1(VALU_DEP_1)
	v_dual_sub_nc_u32 v11, 0, v10 :: v_dual_sub_nc_u32 v26, 0, v9
	v_max_i32_e32 v11, v10, v11
	s_delay_alu instid0(VALU_DEP_2) | instskip(NEXT) | instid1(VALU_DEP_2)
	v_max_i32_e32 v26, v9, v26
	v_cvt_f32_u32_e32 v13, v11
	v_sub_nc_u32_e32 v25, 0, v11
	s_delay_alu instid0(VALU_DEP_2) | instskip(SKIP_1) | instid1(TRANS32_DEP_1)
	v_rcp_iflag_f32_e32 v13, v13
	v_nop
	v_mul_f32_e32 v13, 0x4f7ffffe, v13
	s_delay_alu instid0(VALU_DEP_1) | instskip(NEXT) | instid1(VALU_DEP_1)
	v_cvt_u32_f32_e32 v13, v13
	v_mul_lo_u32 v25, v25, v13
	s_delay_alu instid0(VALU_DEP_1) | instskip(NEXT) | instid1(VALU_DEP_1)
	v_mul_hi_u32 v25, v13, v25
	v_add_nc_u32_e32 v13, v13, v25
	s_delay_alu instid0(VALU_DEP_1) | instskip(NEXT) | instid1(VALU_DEP_1)
	v_mul_hi_u32 v13, v26, v13
	v_mul_lo_u32 v25, v13, v11
	v_add_nc_u32_e32 v27, 1, v13
	s_delay_alu instid0(VALU_DEP_2) | instskip(NEXT) | instid1(VALU_DEP_1)
	v_sub_nc_u32_e32 v25, v26, v25
	v_cmp_ge_u32_e32 vcc_lo, v25, v11
	s_delay_alu instid0(VALU_DEP_3) | instskip(SKIP_1) | instid1(VALU_DEP_1)
	v_cndmask_b32_e32 v13, v13, v27, vcc_lo
	v_xor_b32_e32 v9, v9, v10
	v_dual_sub_nc_u32 v26, v25, v11 :: v_dual_ashrrev_i32 v9, 31, v9
	s_delay_alu instid0(VALU_DEP_1) | instskip(NEXT) | instid1(VALU_DEP_1)
	v_dual_cndmask_b32 v25, v25, v26 :: v_dual_add_nc_u32 v26, 1, v13
	v_cmp_ge_u32_e32 vcc_lo, v25, v11
	s_delay_alu instid0(VALU_DEP_2) | instskip(NEXT) | instid1(VALU_DEP_1)
	v_cndmask_b32_e32 v11, v13, v26, vcc_lo
	v_dual_add_nc_u32 v10, -1, v10 :: v_dual_bitop2_b32 v11, v11, v9 bitop3:0x14
	s_delay_alu instid0(VALU_DEP_1) | instskip(NEXT) | instid1(VALU_DEP_2)
	v_sub_nc_u32_e32 v9, v11, v9
	v_cmp_eq_u32_e32 vcc_lo, 0, v10
	s_or_b32 s2, vcc_lo, s2
	s_delay_alu instid0(SALU_CYCLE_1)
	s_and_not1_b32 exec_lo, exec_lo, s2
	s_cbranch_execnz .LBB1_105
; %bb.106:                              ;   in Loop: Header=BB1_82 Depth=2
	s_or_b32 exec_lo, exec_lo, s2
	v_dual_sub_nc_u32 v10, v22, v24 :: v_dual_add_nc_u32 v21, v12, v21
	s_add_co_i32 s2, s14, 1
	s_lshl_b32 s3, s14, 2
	v_cmp_eq_u32_e32 vcc_lo, s2, v20
	s_delay_alu instid0(VALU_DEP_2)
	v_dual_add_nc_u32 v22, v9, v10 :: v_dual_add_nc_u32 v23, -1, v23
	s_addk_co_i32 s3, 0xc0
	s_mov_b32 s14, s2
	s_or_b32 s13, vcc_lo, s13
	scratch_store_b32 off, v21, s3
	s_wait_xcnt 0x0
	s_and_not1_b32 exec_lo, exec_lo, s13
	s_cbranch_execnz .LBB1_82
; %bb.107:                              ;   in Loop: Header=BB1_52 Depth=1
	s_or_b32 exec_lo, exec_lo, s13
.LBB1_108:                              ;   in Loop: Header=BB1_52 Depth=1
	s_delay_alu instid0(SALU_CYCLE_1) | instskip(NEXT) | instid1(VALU_DEP_2)
	s_or_b32 exec_lo, exec_lo, s12
	v_add_nc_u32_e32 v7, v21, v22
	s_mov_b32 s3, exec_lo
	scratch_store_b32 v20, v7, off offset:192 scale_offset
	s_wait_xcnt 0x0
	v_cmpx_gt_u32_e32 3, v20
	s_cbranch_execz .LBB1_115
; %bb.109:                              ;   in Loop: Header=BB1_52 Depth=1
	v_max_i32_e32 v9, 2, v1
	s_mov_b32 s14, 0
	s_mov_b32 s12, 0
	s_delay_alu instid0(VALU_DEP_1) | instskip(NEXT) | instid1(VALU_DEP_1)
	v_dual_sub_nc_u32 v1, 6, v9 :: v_dual_sub_nc_u32 v8, 4, v9
	v_dual_mov_b32 v1, v8 :: v_dual_bitop2_b32 v7, -2, v1 bitop3:0x40
	v_lshl_add_u32 v9, v9, 2, s17
	s_branch .LBB1_111
.LBB1_110:                              ;   in Loop: Header=BB1_111 Depth=2
	s_wait_xcnt 0x0
	s_or_b32 exec_lo, exec_lo, s2
	s_add_co_i32 s12, s12, 2
	v_add_nc_u32_e32 v9, 8, v9
	v_cmp_eq_u32_e32 vcc_lo, s12, v7
	s_or_b32 s14, vcc_lo, s14
	s_delay_alu instid0(SALU_CYCLE_1)
	s_and_not1_b32 exec_lo, exec_lo, s14
	s_cbranch_execz .LBB1_115
.LBB1_111:                              ;   Parent Loop BB1_52 Depth=1
                                        ; =>  This Inner Loop Header: Depth=2
	s_mov_b32 s13, s12
	s_delay_alu instid0(SALU_CYCLE_1)
	s_or_b64 s[24:25], s[12:13], 0x100000000
	s_mov_b32 s13, exec_lo
	v_cmp_le_u32_e32 vcc_lo, s25, v1
	v_cmpx_le_u32_e64 s24, v8
	s_cbranch_execz .LBB1_113
; %bb.112:                              ;   in Loop: Header=BB1_111 Depth=2
	scratch_store_b32 v9, v6, off
.LBB1_113:                              ;   in Loop: Header=BB1_111 Depth=2
	s_wait_xcnt 0x0
	s_or_b32 exec_lo, exec_lo, s13
	s_and_saveexec_b32 s2, vcc_lo
	s_cbranch_execz .LBB1_110
; %bb.114:                              ;   in Loop: Header=BB1_111 Depth=2
	scratch_store_b32 v9, v6, off offset:4
	s_branch .LBB1_110
.LBB1_115:                              ;   in Loop: Header=BB1_52 Depth=1
	s_or_b32 exec_lo, exec_lo, s3
.LBB1_116:                              ;   in Loop: Header=BB1_52 Depth=1
	s_and_not1_saveexec_b32 s2, s22
	s_cbranch_execz .LBB1_118
; %bb.117:                              ;   in Loop: Header=BB1_52 Depth=1
	v_dual_mov_b32 v7, v6 :: v_dual_mov_b32 v8, v6
	v_mov_b32_e32 v9, v6
	scratch_store_b128 off, v[6:9], off offset:192
.LBB1_118:                              ;   in Loop: Header=BB1_52 Depth=1
	s_wait_xcnt 0x0
	s_or_b32 exec_lo, exec_lo, s2
	scratch_load_b32 v7, off, off offset:192
                                        ; implicit-def: $vgpr1
	s_mov_b32 s2, exec_lo
	s_wait_loadcnt 0x0
	v_cmpx_lt_i32_e32 -1, v7
	s_xor_b32 s12, exec_lo, s2
	s_cbranch_execz .LBB1_158
; %bb.119:                              ;   in Loop: Header=BB1_52 Depth=1
	scratch_load_b32 v1, v7, off scale_offset
	scratch_load_b32 v8, off, off offset:196
	s_wait_xcnt 0x1
	v_mov_b32_e32 v7, 1
	s_wait_loadcnt 0x1
	v_cmp_ge_i32_e32 vcc_lo, s10, v1
	s_wait_loadcnt 0x0
	v_cmp_lt_i32_e64 s2, -1, v8
	v_add_co_ci_u32_e64 v9, null, 0, v1, vcc_lo
	v_mov_b32_e32 v1, v15
	scratch_store_b32 off, v9, off offset:192
	s_wait_xcnt 0x0
	s_and_saveexec_b32 s3, s2
	s_cbranch_execz .LBB1_125
; %bb.120:                              ;   in Loop: Header=BB1_52 Depth=1
	scratch_load_b32 v1, v8, off scale_offset
	scratch_load_b32 v8, off, off offset:200
	v_mov_b32_e32 v7, 2
	s_mov_b32 s13, exec_lo
	s_wait_loadcnt 0x1
	v_cmp_ge_i32_e32 vcc_lo, s10, v1
	v_add_co_ci_u32_e64 v9, null, 0, v1, vcc_lo
	v_mov_b32_e32 v1, v16
	scratch_store_b32 off, v9, off offset:196
	s_wait_loadcnt 0x0
	v_cmpx_lt_i32_e32 -1, v8
	s_cbranch_execz .LBB1_124
; %bb.121:                              ;   in Loop: Header=BB1_52 Depth=1
	scratch_load_b32 v1, v8, off scale_offset
	scratch_load_b32 v8, off, off offset:204
	v_mov_b32_e32 v7, 3
	s_mov_b32 s14, exec_lo
	s_wait_loadcnt 0x1
	v_cmp_ge_i32_e32 vcc_lo, s10, v1
	v_add_co_ci_u32_e64 v9, null, 0, v1, vcc_lo
	v_mov_b32_e32 v1, v17
	scratch_store_b32 off, v9, off offset:200
	s_wait_loadcnt 0x0
	v_cmpx_lt_i32_e32 -1, v8
	s_cbranch_execz .LBB1_123
; %bb.122:                              ;   in Loop: Header=BB1_52 Depth=1
	scratch_load_b32 v1, v8, off scale_offset
	v_mov_b32_e32 v7, 4
	s_wait_loadcnt 0x0
	v_cmp_ge_i32_e32 vcc_lo, s10, v1
	s_wait_xcnt 0x0
	v_add_co_ci_u32_e64 v8, null, 0, v1, vcc_lo
	v_mov_b32_e32 v1, v18
	scratch_store_b32 off, v8, off offset:204
.LBB1_123:                              ;   in Loop: Header=BB1_52 Depth=1
	s_wait_xcnt 0x0
	s_or_b32 exec_lo, exec_lo, s14
.LBB1_124:                              ;   in Loop: Header=BB1_52 Depth=1
	s_delay_alu instid0(SALU_CYCLE_1)
	s_or_b32 exec_lo, exec_lo, s13
.LBB1_125:                              ;   in Loop: Header=BB1_52 Depth=1
	s_delay_alu instid0(SALU_CYCLE_1)
	s_or_b32 exec_lo, exec_lo, s3
	v_add_nc_u32_e32 v8, 1, v7
	v_lshl_add_u32 v9, v7, 2, s17
	s_mov_b32 s3, 0
.LBB1_126:                              ;   Parent Loop BB1_52 Depth=1
                                        ; =>  This Inner Loop Header: Depth=2
	scratch_load_b32 v10, v9, off
	v_add_nc_u32_e32 v8, -1, v8
	s_wait_loadcnt 0x0
	scratch_store_b32 v9, v10, off offset:4
	s_wait_xcnt 0x0
	v_add_nc_u32_e32 v9, -4, v9
	v_cmp_gt_u32_e32 vcc_lo, 2, v8
	s_or_b32 s3, vcc_lo, s3
	s_delay_alu instid0(SALU_CYCLE_1)
	s_and_not1_b32 exec_lo, exec_lo, s3
	s_cbranch_execnz .LBB1_126
; %bb.127:                              ;   in Loop: Header=BB1_52 Depth=1
	s_or_b32 exec_lo, exec_lo, s3
	v_mov_b32_e32 v20, 0
	scratch_store_b32 off, v20, off offset:192
	s_wait_xcnt 0x0
	s_and_saveexec_b32 s3, s2
	s_cbranch_execz .LBB1_139
; %bb.128:                              ;   in Loop: Header=BB1_52 Depth=1
	s_mov_b32 s14, 1
	s_mov_b32 s13, 0
	;; [unrolled: 1-line block ×3, first 2 shown]
.LBB1_129:                              ;   Parent Loop BB1_52 Depth=1
                                        ; =>  This Loop Header: Depth=2
                                        ;       Child Loop BB1_131 Depth 3
                                        ;       Child Loop BB1_134 Depth 3
	;; [unrolled: 1-line block ×3, first 2 shown]
	s_cmp_lt_u32 s14, 4
	s_cbranch_scc1 .LBB1_133
; %bb.130:                              ;   in Loop: Header=BB1_129 Depth=2
	s_and_b32 s23, s14, -4
	s_mov_b32 s22, 1
	s_mov_b32 s24, 43
	;; [unrolled: 1-line block ×6, first 2 shown]
.LBB1_131:                              ;   Parent Loop BB1_52 Depth=1
                                        ;     Parent Loop BB1_129 Depth=2
                                        ; =>    This Inner Loop Header: Depth=3
	s_add_co_i32 s29, s25, -2
	s_add_co_i32 s30, s24, -2
	;; [unrolled: 1-line block ×3, first 2 shown]
	s_mul_i32 s27, s27, s24
	s_mul_i32 s22, s22, s25
	s_add_co_i32 s25, s25, -4
	s_add_co_i32 s24, s24, -4
	s_mul_i32 s28, s28, s30
	s_cmp_lg_u32 s23, 0
	s_mul_i32 s26, s26, s29
	s_cbranch_scc1 .LBB1_131
; %bb.132:                              ;   in Loop: Header=BB1_129 Depth=2
	s_and_b32 s23, s14, 0x7ffffffc
	s_mul_i32 s25, s28, s27
	s_sub_co_i32 s24, 44, s23
	s_mul_i32 s22, s26, s22
	s_cmp_lg_u32 s14, s23
	s_mul_i32 s22, s22, s25
	s_cselect_b32 s25, -1, 0
	s_delay_alu instid0(SALU_CYCLE_1)
	s_and_b32 vcc_lo, exec_lo, s25
	s_cbranch_vccnz .LBB1_134
	s_branch .LBB1_135
.LBB1_133:                              ;   in Loop: Header=BB1_129 Depth=2
	s_mov_b32 s24, 44
	s_mov_b32 s23, 0
	;; [unrolled: 1-line block ×3, first 2 shown]
	s_cbranch_execz .LBB1_135
.LBB1_134:                              ;   Parent Loop BB1_52 Depth=1
                                        ;     Parent Loop BB1_129 Depth=2
                                        ; =>    This Inner Loop Header: Depth=3
	s_add_co_i32 s23, s23, 1
	s_mul_i32 s22, s22, s24
	s_add_co_i32 s24, s24, -1
	s_cmp_lg_u32 s14, s23
	s_cbranch_scc1 .LBB1_134
.LBB1_135:                              ;   in Loop: Header=BB1_129 Depth=2
	s_mov_b32 s23, s14
.LBB1_136:                              ;   Parent Loop BB1_52 Depth=1
                                        ;     Parent Loop BB1_129 Depth=2
                                        ; =>    This Inner Loop Header: Depth=3
	s_delay_alu instid0(SALU_CYCLE_1) | instskip(SKIP_4) | instid1(SALU_CYCLE_1)
	s_abs_i32 s24, s23
	s_abs_i32 s27, s22
	s_cvt_f32_u32 s25, s24
	s_sub_co_i32 s26, 0, s24
	s_xor_b32 s22, s22, s23
	s_ashr_i32 s22, s22, 31
	v_rcp_iflag_f32_e32 v8, s25
	v_nop
	s_delay_alu instid0(TRANS32_DEP_1) | instskip(SKIP_1) | instid1(SALU_CYCLE_3)
	v_readfirstlane_b32 s25, v8
	s_mul_f32 s25, s25, 0x4f7ffffe
	s_cvt_u32_f32 s25, s25
	s_delay_alu instid0(SALU_CYCLE_3) | instskip(NEXT) | instid1(SALU_CYCLE_1)
	s_mul_i32 s26, s26, s25
	s_mul_hi_u32 s26, s25, s26
	s_delay_alu instid0(SALU_CYCLE_1) | instskip(NEXT) | instid1(SALU_CYCLE_1)
	s_add_co_i32 s25, s25, s26
	s_mul_hi_u32 s25, s27, s25
	s_delay_alu instid0(SALU_CYCLE_1) | instskip(NEXT) | instid1(SALU_CYCLE_1)
	s_mul_i32 s26, s25, s24
	s_sub_co_i32 s26, s27, s26
	s_add_co_i32 s27, s25, 1
	s_sub_co_i32 s28, s26, s24
	s_cmp_ge_u32 s26, s24
	s_cselect_b32 s25, s27, s25
	s_cselect_b32 s26, s28, s26
	s_add_co_i32 s27, s25, 1
	s_cmp_ge_u32 s26, s24
	s_cselect_b32 s24, s27, s25
	s_add_co_i32 s23, s23, -1
	s_xor_b32 s24, s24, s22
	s_delay_alu instid0(SALU_CYCLE_1)
	s_sub_co_i32 s22, s24, s22
	s_cmp_lg_u32 s23, 0
	s_cbranch_scc1 .LBB1_136
; %bb.137:                              ;   in Loop: Header=BB1_129 Depth=2
	s_add_co_i32 s14, s14, 1
	s_add_co_i32 s15, s22, s15
	v_cmp_eq_u32_e32 vcc_lo, s14, v7
	v_mov_b32_e32 v20, s15
	s_or_b32 s13, vcc_lo, s13
	s_delay_alu instid0(SALU_CYCLE_1)
	s_and_not1_b32 exec_lo, exec_lo, s13
	s_cbranch_execnz .LBB1_129
; %bb.138:                              ;   in Loop: Header=BB1_52 Depth=1
	s_or_b32 exec_lo, exec_lo, s13
.LBB1_139:                              ;   in Loop: Header=BB1_52 Depth=1
	s_delay_alu instid0(SALU_CYCLE_1)
	s_or_b32 exec_lo, exec_lo, s3
	s_and_saveexec_b32 s13, s2
	s_cbranch_execz .LBB1_157
; %bb.140:                              ;   in Loop: Header=BB1_52 Depth=1
	v_add_nc_u32_e32 v21, -1, v7
	s_mov_b32 s15, 1
	s_mov_b32 s14, 0
	;; [unrolled: 1-line block ×3, first 2 shown]
	s_branch .LBB1_142
.LBB1_141:                              ;   in Loop: Header=BB1_142 Depth=2
	s_or_b32 exec_lo, exec_lo, s23
	s_add_co_i32 s15, s15, 1
	v_add_nc_u32_e32 v21, -1, v21
	v_cmp_eq_u32_e32 vcc_lo, s15, v7
	s_add_co_i32 s22, s22, 1
	s_or_b32 s14, vcc_lo, s14
	s_delay_alu instid0(SALU_CYCLE_1)
	s_and_not1_b32 exec_lo, exec_lo, s14
	s_cbranch_execz .LBB1_156
.LBB1_142:                              ;   Parent Loop BB1_52 Depth=1
                                        ; =>  This Loop Header: Depth=2
                                        ;       Child Loop BB1_144 Depth 3
                                        ;         Child Loop BB1_146 Depth 4
                                        ;         Child Loop BB1_150 Depth 4
	;; [unrolled: 1-line block ×3, first 2 shown]
	s_lshl_b32 s2, s15, 2
	s_mov_b32 s23, exec_lo
	s_addk_co_i32 s2, 0xc0
	scratch_load_b64 v[8:9], off, s2 offset:-4
	s_wait_loadcnt 0x0
	v_add_nc_u32_e32 v9, -1, v9
	s_wait_xcnt 0x0
	s_delay_alu instid0(VALU_DEP_1)
	v_cmpx_lt_i32_e64 v8, v9
	s_cbranch_execz .LBB1_141
; %bb.143:                              ;   in Loop: Header=BB1_142 Depth=2
	v_xad_u32 v10, s22, -1, v7
	v_and_b32_e32 v23, -2, v21
	v_subrev_nc_u32_e32 v24, s15, v7
	s_mov_b32 s24, 0
	s_delay_alu instid0(VALU_DEP_3) | instskip(SKIP_1) | instid1(VALU_DEP_2)
	v_and_b32_e32 v22, -2, v10
	v_cmp_lt_u32_e32 vcc_lo, 1, v10
	v_cmp_ne_u32_e64 s2, v10, v22
.LBB1_144:                              ;   Parent Loop BB1_52 Depth=1
                                        ;     Parent Loop BB1_142 Depth=2
                                        ; =>    This Loop Header: Depth=3
                                        ;         Child Loop BB1_146 Depth 4
                                        ;         Child Loop BB1_150 Depth 4
	;; [unrolled: 1-line block ×3, first 2 shown]
	v_dual_mov_b32 v11, 1 :: v_dual_sub_nc_u32 v10, 43, v8
	v_mov_b32_e32 v12, 0
	s_mov_b32 s3, -1
	s_and_saveexec_b32 s25, vcc_lo
	s_cbranch_execz .LBB1_148
; %bb.145:                              ;   in Loop: Header=BB1_144 Depth=3
	v_dual_add_nc_u32 v11, -1, v10 :: v_dual_mov_b32 v25, 1
	v_mov_b32_e32 v26, v23
	s_mov_b32 s26, 0
	s_delay_alu instid0(VALU_DEP_2)
	v_mov_b64_e32 v[12:13], v[10:11]
	v_mov_b32_e32 v11, 1
.LBB1_146:                              ;   Parent Loop BB1_52 Depth=1
                                        ;     Parent Loop BB1_142 Depth=2
                                        ;       Parent Loop BB1_144 Depth=3
                                        ; =>      This Inner Loop Header: Depth=4
	s_delay_alu instid0(VALU_DEP_3) | instskip(NEXT) | instid1(VALU_DEP_2)
	v_add_nc_u32_e32 v26, -2, v26
	v_mul_lo_u32 v11, v11, v13
	s_delay_alu instid0(VALU_DEP_4) | instskip(SKIP_1) | instid1(VALU_DEP_4)
	v_mul_lo_u32 v25, v25, v12
	v_dual_add_nc_u32 v13, -2, v13 :: v_dual_add_nc_u32 v12, -2, v12
	v_cmp_eq_u32_e64 s3, 0, v26
	s_or_b32 s26, s3, s26
	s_delay_alu instid0(SALU_CYCLE_1)
	s_and_not1_b32 exec_lo, exec_lo, s26
	s_cbranch_execnz .LBB1_146
; %bb.147:                              ;   in Loop: Header=BB1_144 Depth=3
	s_or_b32 exec_lo, exec_lo, s26
	v_mul_lo_u32 v11, v25, v11
	v_sub_nc_u32_e32 v10, v10, v22
	v_mov_b32_e32 v12, v22
	s_or_not1_b32 s3, s2, exec_lo
.LBB1_148:                              ;   in Loop: Header=BB1_144 Depth=3
	s_or_b32 exec_lo, exec_lo, s25
	s_and_saveexec_b32 s25, s3
	s_cbranch_execz .LBB1_152
; %bb.149:                              ;   in Loop: Header=BB1_144 Depth=3
	s_mov_b32 s26, 0
.LBB1_150:                              ;   Parent Loop BB1_52 Depth=1
                                        ;     Parent Loop BB1_142 Depth=2
                                        ;       Parent Loop BB1_144 Depth=3
                                        ; =>      This Inner Loop Header: Depth=4
	v_add_nc_u32_e32 v12, 1, v12
	s_delay_alu instid0(VALU_DEP_4) | instskip(SKIP_1) | instid1(VALU_DEP_3)
	v_mul_lo_u32 v11, v11, v10
	v_add_nc_u32_e32 v10, -1, v10
	v_cmp_eq_u32_e64 s3, v21, v12
	s_or_b32 s26, s3, s26
	s_delay_alu instid0(SALU_CYCLE_1)
	s_and_not1_b32 exec_lo, exec_lo, s26
	s_cbranch_execnz .LBB1_150
; %bb.151:                              ;   in Loop: Header=BB1_144 Depth=3
	s_or_b32 exec_lo, exec_lo, s26
.LBB1_152:                              ;   in Loop: Header=BB1_144 Depth=3
	s_delay_alu instid0(SALU_CYCLE_1)
	s_or_b32 exec_lo, exec_lo, s25
	v_mov_b32_e32 v10, v24
	s_mov_b32 s25, 0
.LBB1_153:                              ;   Parent Loop BB1_52 Depth=1
                                        ;     Parent Loop BB1_142 Depth=2
                                        ;       Parent Loop BB1_144 Depth=3
                                        ; =>      This Inner Loop Header: Depth=4
	s_delay_alu instid0(VALU_DEP_1) | instskip(NEXT) | instid1(VALU_DEP_1)
	v_dual_sub_nc_u32 v12, 0, v10 :: v_dual_sub_nc_u32 v26, 0, v11
	v_max_i32_e32 v12, v10, v12
	s_delay_alu instid0(VALU_DEP_2) | instskip(SKIP_1) | instid1(VALU_DEP_3)
	v_max_i32_e32 v26, v11, v26
	v_xor_b32_e32 v11, v11, v10
	v_cvt_f32_u32_e32 v13, v12
	v_sub_nc_u32_e32 v25, 0, v12
	s_delay_alu instid0(VALU_DEP_2) | instskip(SKIP_1) | instid1(TRANS32_DEP_1)
	v_rcp_iflag_f32_e32 v13, v13
	v_nop
	v_mul_f32_e32 v13, 0x4f7ffffe, v13
	s_delay_alu instid0(VALU_DEP_1) | instskip(NEXT) | instid1(VALU_DEP_1)
	v_cvt_u32_f32_e32 v13, v13
	v_mul_lo_u32 v25, v25, v13
	s_delay_alu instid0(VALU_DEP_1) | instskip(NEXT) | instid1(VALU_DEP_1)
	v_mul_hi_u32 v25, v13, v25
	v_add_nc_u32_e32 v13, v13, v25
	s_delay_alu instid0(VALU_DEP_1) | instskip(NEXT) | instid1(VALU_DEP_1)
	v_mul_hi_u32 v13, v26, v13
	v_mul_lo_u32 v25, v13, v12
	s_delay_alu instid0(VALU_DEP_1) | instskip(NEXT) | instid1(VALU_DEP_1)
	v_sub_nc_u32_e32 v25, v26, v25
	v_dual_add_nc_u32 v27, 1, v13 :: v_dual_sub_nc_u32 v26, v25, v12
	v_cmp_ge_u32_e64 s3, v25, v12
	s_delay_alu instid0(VALU_DEP_1) | instskip(NEXT) | instid1(VALU_DEP_1)
	v_cndmask_b32_e64 v13, v13, v27, s3
	v_dual_cndmask_b32 v25, v25, v26, s3 :: v_dual_add_nc_u32 v26, 1, v13
	s_delay_alu instid0(VALU_DEP_1) | instskip(NEXT) | instid1(VALU_DEP_1)
	v_cmp_ge_u32_e64 s3, v25, v12
	v_dual_ashrrev_i32 v11, 31, v11 :: v_dual_cndmask_b32 v12, v13, v26, s3
	s_delay_alu instid0(VALU_DEP_1) | instskip(NEXT) | instid1(VALU_DEP_1)
	v_dual_add_nc_u32 v10, -1, v10 :: v_dual_bitop2_b32 v12, v12, v11 bitop3:0x14
	v_cmp_eq_u32_e64 s3, 0, v10
	s_delay_alu instid0(VALU_DEP_2) | instskip(SKIP_1) | instid1(SALU_CYCLE_1)
	v_sub_nc_u32_e32 v11, v12, v11
	s_or_b32 s25, s3, s25
	s_and_not1_b32 exec_lo, exec_lo, s25
	s_cbranch_execnz .LBB1_153
; %bb.154:                              ;   in Loop: Header=BB1_144 Depth=3
	s_or_b32 exec_lo, exec_lo, s25
	v_add_nc_u32_e32 v8, 1, v8
	v_add_nc_u32_e32 v20, v11, v20
	s_delay_alu instid0(VALU_DEP_2) | instskip(SKIP_1) | instid1(SALU_CYCLE_1)
	v_cmp_ge_i32_e64 s3, v8, v9
	s_or_b32 s24, s3, s24
	s_and_not1_b32 exec_lo, exec_lo, s24
	s_cbranch_execnz .LBB1_144
; %bb.155:                              ;   in Loop: Header=BB1_142 Depth=2
	s_or_b32 exec_lo, exec_lo, s24
	s_branch .LBB1_141
.LBB1_156:                              ;   in Loop: Header=BB1_52 Depth=1
	s_or_b32 exec_lo, exec_lo, s14
.LBB1_157:                              ;   in Loop: Header=BB1_52 Depth=1
	s_delay_alu instid0(SALU_CYCLE_1) | instskip(SKIP_3) | instid1(VALU_DEP_1)
	s_or_b32 exec_lo, exec_lo, s13
	scratch_load_b64 v[8:9], v1, off offset:-4
	s_wait_loadcnt 0x0
	v_add_nc_u32_e32 v1, v9, v20
	v_sub_nc_u32_e32 v1, v1, v8
.LBB1_158:                              ;   in Loop: Header=BB1_52 Depth=1
	s_and_not1_saveexec_b32 s2, s12
	s_cbranch_execz .LBB1_50
; %bb.159:                              ;   in Loop: Header=BB1_52 Depth=1
	v_mov_b32_e32 v1, 0
	scratch_store_b32 off, v1, off offset:192
	s_branch .LBB1_50
.LBB1_160:
	s_or_b32 exec_lo, exec_lo, s18
	s_branch .LBB1_204
.LBB1_161:
	v_mov_b32_e32 v1, 2
	s_lshl_b32 s2, s8, 2
	s_add_co_i32 s8, s8, 1
	scratch_store_b32 off, v1, s2
	s_wait_xcnt 0x0
	s_load_u8 s2, s[6:7], 0x3
	s_wait_kmcnt 0x0
	s_cmp_eq_u32 s2, 0
	s_cbranch_scc1 .LBB1_6
.LBB1_162:
	v_mov_b32_e32 v1, 3
	s_lshl_b32 s2, s8, 2
	s_add_co_i32 s8, s8, 1
	scratch_store_b32 off, v1, s2
	s_wait_xcnt 0x0
	s_load_u8 s2, s[6:7], 0x4
	s_wait_kmcnt 0x0
	s_cmp_eq_u32 s2, 0
	s_cbranch_scc1 .LBB1_7
.LBB1_163:
	v_mov_b32_e32 v1, 4
	s_lshl_b32 s2, s8, 2
	s_add_co_i32 s8, s8, 1
	scratch_store_b32 off, v1, s2
	s_wait_xcnt 0x0
	s_load_u8 s2, s[6:7], 0x5
	s_wait_kmcnt 0x0
	s_cmp_eq_u32 s2, 0
	s_cbranch_scc1 .LBB1_8
.LBB1_164:
	v_mov_b32_e32 v1, 5
	s_lshl_b32 s2, s8, 2
	s_add_co_i32 s8, s8, 1
	scratch_store_b32 off, v1, s2
	s_wait_xcnt 0x0
	s_load_u8 s2, s[6:7], 0x6
	s_wait_kmcnt 0x0
	s_cmp_eq_u32 s2, 0
	s_cbranch_scc1 .LBB1_9
.LBB1_165:
	v_mov_b32_e32 v1, 6
	s_lshl_b32 s2, s8, 2
	s_add_co_i32 s8, s8, 1
	scratch_store_b32 off, v1, s2
	s_wait_xcnt 0x0
	s_load_u8 s2, s[6:7], 0x7
	s_wait_kmcnt 0x0
	s_cmp_eq_u32 s2, 0
	s_cbranch_scc1 .LBB1_10
.LBB1_166:
	v_mov_b32_e32 v1, 7
	s_lshl_b32 s2, s8, 2
	s_add_co_i32 s8, s8, 1
	scratch_store_b32 off, v1, s2
	s_wait_xcnt 0x0
	s_load_u8 s2, s[6:7], 0x8
	s_wait_kmcnt 0x0
	s_cmp_eq_u32 s2, 0
	s_cbranch_scc1 .LBB1_11
.LBB1_167:
	v_mov_b32_e32 v1, 8
	s_lshl_b32 s2, s8, 2
	s_add_co_i32 s8, s8, 1
	scratch_store_b32 off, v1, s2
	s_wait_xcnt 0x0
	s_load_u8 s2, s[6:7], 0x9
	s_wait_kmcnt 0x0
	s_cmp_eq_u32 s2, 0
	s_cbranch_scc1 .LBB1_12
.LBB1_168:
	v_mov_b32_e32 v1, 9
	s_lshl_b32 s2, s8, 2
	s_add_co_i32 s8, s8, 1
	scratch_store_b32 off, v1, s2
	s_wait_xcnt 0x0
	s_load_u8 s2, s[6:7], 0xa
	s_wait_kmcnt 0x0
	s_cmp_eq_u32 s2, 0
	s_cbranch_scc1 .LBB1_13
.LBB1_169:
	v_mov_b32_e32 v1, 10
	s_lshl_b32 s2, s8, 2
	s_add_co_i32 s8, s8, 1
	scratch_store_b32 off, v1, s2
	s_wait_xcnt 0x0
	s_load_u8 s2, s[6:7], 0xb
	s_wait_kmcnt 0x0
	s_cmp_eq_u32 s2, 0
	s_cbranch_scc1 .LBB1_14
.LBB1_170:
	v_mov_b32_e32 v1, 11
	s_lshl_b32 s2, s8, 2
	s_add_co_i32 s8, s8, 1
	scratch_store_b32 off, v1, s2
	s_wait_xcnt 0x0
	s_load_u8 s2, s[6:7], 0xc
	s_wait_kmcnt 0x0
	s_cmp_eq_u32 s2, 0
	s_cbranch_scc1 .LBB1_15
.LBB1_171:
	v_mov_b32_e32 v1, 12
	s_lshl_b32 s2, s8, 2
	s_add_co_i32 s8, s8, 1
	scratch_store_b32 off, v1, s2
	s_wait_xcnt 0x0
	s_load_u8 s2, s[6:7], 0xd
	s_wait_kmcnt 0x0
	s_cmp_eq_u32 s2, 0
	s_cbranch_scc1 .LBB1_16
.LBB1_172:
	v_mov_b32_e32 v1, 13
	s_lshl_b32 s2, s8, 2
	s_add_co_i32 s8, s8, 1
	scratch_store_b32 off, v1, s2
	s_wait_xcnt 0x0
	s_load_u8 s2, s[6:7], 0xe
	s_wait_kmcnt 0x0
	s_cmp_eq_u32 s2, 0
	s_cbranch_scc1 .LBB1_17
.LBB1_173:
	v_mov_b32_e32 v1, 14
	s_lshl_b32 s2, s8, 2
	s_add_co_i32 s8, s8, 1
	scratch_store_b32 off, v1, s2
	s_wait_xcnt 0x0
	s_load_u8 s2, s[6:7], 0xf
	s_wait_kmcnt 0x0
	s_cmp_eq_u32 s2, 0
	s_cbranch_scc1 .LBB1_18
.LBB1_174:
	v_mov_b32_e32 v1, 15
	s_lshl_b32 s2, s8, 2
	s_add_co_i32 s8, s8, 1
	scratch_store_b32 off, v1, s2
	s_wait_xcnt 0x0
	s_load_u8 s2, s[6:7], 0x10
	s_wait_kmcnt 0x0
	s_cmp_eq_u32 s2, 0
	s_cbranch_scc1 .LBB1_19
.LBB1_175:
	v_mov_b32_e32 v1, 16
	s_lshl_b32 s2, s8, 2
	s_add_co_i32 s8, s8, 1
	scratch_store_b32 off, v1, s2
	s_wait_xcnt 0x0
	s_load_u8 s2, s[6:7], 0x11
	s_wait_kmcnt 0x0
	s_cmp_eq_u32 s2, 0
	s_cbranch_scc1 .LBB1_20
.LBB1_176:
	v_mov_b32_e32 v1, 17
	s_lshl_b32 s2, s8, 2
	s_add_co_i32 s8, s8, 1
	scratch_store_b32 off, v1, s2
	s_wait_xcnt 0x0
	s_load_u8 s2, s[6:7], 0x12
	s_wait_kmcnt 0x0
	s_cmp_eq_u32 s2, 0
	s_cbranch_scc1 .LBB1_21
.LBB1_177:
	v_mov_b32_e32 v1, 18
	s_lshl_b32 s2, s8, 2
	s_add_co_i32 s8, s8, 1
	scratch_store_b32 off, v1, s2
	s_wait_xcnt 0x0
	s_load_u8 s2, s[6:7], 0x13
	s_wait_kmcnt 0x0
	s_cmp_eq_u32 s2, 0
	s_cbranch_scc1 .LBB1_22
.LBB1_178:
	v_mov_b32_e32 v1, 19
	s_lshl_b32 s2, s8, 2
	s_add_co_i32 s8, s8, 1
	scratch_store_b32 off, v1, s2
	s_wait_xcnt 0x0
	s_load_u8 s2, s[6:7], 0x14
	s_wait_kmcnt 0x0
	s_cmp_eq_u32 s2, 0
	s_cbranch_scc1 .LBB1_23
.LBB1_179:
	v_mov_b32_e32 v1, 20
	s_lshl_b32 s2, s8, 2
	s_add_co_i32 s8, s8, 1
	scratch_store_b32 off, v1, s2
	s_wait_xcnt 0x0
	s_load_u8 s2, s[6:7], 0x15
	s_wait_kmcnt 0x0
	s_cmp_eq_u32 s2, 0
	s_cbranch_scc1 .LBB1_24
.LBB1_180:
	v_mov_b32_e32 v1, 21
	s_lshl_b32 s2, s8, 2
	s_add_co_i32 s8, s8, 1
	scratch_store_b32 off, v1, s2
	s_wait_xcnt 0x0
	s_load_u8 s2, s[6:7], 0x16
	s_wait_kmcnt 0x0
	s_cmp_eq_u32 s2, 0
	s_cbranch_scc1 .LBB1_25
.LBB1_181:
	v_mov_b32_e32 v1, 22
	s_lshl_b32 s2, s8, 2
	s_add_co_i32 s8, s8, 1
	scratch_store_b32 off, v1, s2
	s_wait_xcnt 0x0
	s_load_u8 s2, s[6:7], 0x17
	s_wait_kmcnt 0x0
	s_cmp_eq_u32 s2, 0
	s_cbranch_scc1 .LBB1_26
.LBB1_182:
	v_mov_b32_e32 v1, 23
	s_lshl_b32 s2, s8, 2
	s_add_co_i32 s8, s8, 1
	scratch_store_b32 off, v1, s2
	s_wait_xcnt 0x0
	s_load_u8 s2, s[6:7], 0x18
	s_wait_kmcnt 0x0
	s_cmp_eq_u32 s2, 0
	s_cbranch_scc1 .LBB1_27
.LBB1_183:
	v_mov_b32_e32 v1, 24
	s_lshl_b32 s2, s8, 2
	s_add_co_i32 s8, s8, 1
	scratch_store_b32 off, v1, s2
	s_wait_xcnt 0x0
	s_load_u8 s2, s[6:7], 0x19
	s_wait_kmcnt 0x0
	s_cmp_eq_u32 s2, 0
	s_cbranch_scc1 .LBB1_28
.LBB1_184:
	v_mov_b32_e32 v1, 25
	s_lshl_b32 s2, s8, 2
	s_add_co_i32 s8, s8, 1
	scratch_store_b32 off, v1, s2
	s_wait_xcnt 0x0
	s_load_u8 s2, s[6:7], 0x1a
	s_wait_kmcnt 0x0
	s_cmp_eq_u32 s2, 0
	s_cbranch_scc1 .LBB1_29
.LBB1_185:
	v_mov_b32_e32 v1, 26
	s_lshl_b32 s2, s8, 2
	s_add_co_i32 s8, s8, 1
	scratch_store_b32 off, v1, s2
	s_wait_xcnt 0x0
	s_load_u8 s2, s[6:7], 0x1b
	s_wait_kmcnt 0x0
	s_cmp_eq_u32 s2, 0
	s_cbranch_scc1 .LBB1_30
.LBB1_186:
	v_mov_b32_e32 v1, 27
	s_lshl_b32 s2, s8, 2
	s_add_co_i32 s8, s8, 1
	scratch_store_b32 off, v1, s2
	s_wait_xcnt 0x0
	s_load_u8 s2, s[6:7], 0x1c
	s_wait_kmcnt 0x0
	s_cmp_eq_u32 s2, 0
	s_cbranch_scc1 .LBB1_31
.LBB1_187:
	v_mov_b32_e32 v1, 28
	s_lshl_b32 s2, s8, 2
	s_add_co_i32 s8, s8, 1
	scratch_store_b32 off, v1, s2
	s_wait_xcnt 0x0
	s_load_u8 s2, s[6:7], 0x1d
	s_wait_kmcnt 0x0
	s_cmp_eq_u32 s2, 0
	s_cbranch_scc1 .LBB1_32
.LBB1_188:
	v_mov_b32_e32 v1, 29
	s_lshl_b32 s2, s8, 2
	s_add_co_i32 s8, s8, 1
	scratch_store_b32 off, v1, s2
	s_wait_xcnt 0x0
	s_load_u8 s2, s[6:7], 0x1e
	s_wait_kmcnt 0x0
	s_cmp_eq_u32 s2, 0
	s_cbranch_scc1 .LBB1_33
.LBB1_189:
	v_mov_b32_e32 v1, 30
	s_lshl_b32 s2, s8, 2
	s_add_co_i32 s8, s8, 1
	scratch_store_b32 off, v1, s2
	s_wait_xcnt 0x0
	s_load_u8 s2, s[6:7], 0x1f
	s_wait_kmcnt 0x0
	s_cmp_eq_u32 s2, 0
	s_cbranch_scc1 .LBB1_34
.LBB1_190:
	v_mov_b32_e32 v1, 31
	s_lshl_b32 s2, s8, 2
	s_add_co_i32 s8, s8, 1
	scratch_store_b32 off, v1, s2
	s_wait_xcnt 0x0
	s_load_u8 s2, s[6:7], 0x20
	s_wait_kmcnt 0x0
	s_cmp_eq_u32 s2, 0
	s_cbranch_scc1 .LBB1_35
.LBB1_191:
	v_mov_b32_e32 v1, 32
	s_lshl_b32 s2, s8, 2
	s_add_co_i32 s8, s8, 1
	scratch_store_b32 off, v1, s2
	s_wait_xcnt 0x0
	s_load_u8 s2, s[6:7], 0x21
	s_wait_kmcnt 0x0
	s_cmp_eq_u32 s2, 0
	s_cbranch_scc1 .LBB1_36
.LBB1_192:
	v_mov_b32_e32 v1, 33
	s_lshl_b32 s2, s8, 2
	s_add_co_i32 s8, s8, 1
	scratch_store_b32 off, v1, s2
	s_wait_xcnt 0x0
	s_load_u8 s2, s[6:7], 0x22
	s_wait_kmcnt 0x0
	s_cmp_eq_u32 s2, 0
	s_cbranch_scc1 .LBB1_37
.LBB1_193:
	v_mov_b32_e32 v1, 34
	s_lshl_b32 s2, s8, 2
	s_add_co_i32 s8, s8, 1
	scratch_store_b32 off, v1, s2
	s_wait_xcnt 0x0
	s_load_u8 s2, s[6:7], 0x23
	s_wait_kmcnt 0x0
	s_cmp_eq_u32 s2, 0
	s_cbranch_scc1 .LBB1_38
.LBB1_194:
	v_mov_b32_e32 v1, 35
	s_lshl_b32 s2, s8, 2
	s_add_co_i32 s8, s8, 1
	scratch_store_b32 off, v1, s2
	s_wait_xcnt 0x0
	s_load_u8 s2, s[6:7], 0x24
	s_wait_kmcnt 0x0
	s_cmp_eq_u32 s2, 0
	s_cbranch_scc1 .LBB1_39
.LBB1_195:
	v_mov_b32_e32 v1, 36
	s_lshl_b32 s2, s8, 2
	s_add_co_i32 s8, s8, 1
	scratch_store_b32 off, v1, s2
	s_wait_xcnt 0x0
	s_load_u8 s2, s[6:7], 0x25
	s_wait_kmcnt 0x0
	s_cmp_eq_u32 s2, 0
	s_cbranch_scc1 .LBB1_40
.LBB1_196:
	v_mov_b32_e32 v1, 37
	s_lshl_b32 s2, s8, 2
	s_add_co_i32 s8, s8, 1
	scratch_store_b32 off, v1, s2
	s_wait_xcnt 0x0
	s_load_u8 s2, s[6:7], 0x26
	s_wait_kmcnt 0x0
	s_cmp_eq_u32 s2, 0
	s_cbranch_scc1 .LBB1_41
.LBB1_197:
	v_mov_b32_e32 v1, 38
	s_lshl_b32 s2, s8, 2
	s_add_co_i32 s8, s8, 1
	scratch_store_b32 off, v1, s2
	s_wait_xcnt 0x0
	s_load_u8 s2, s[6:7], 0x27
	s_wait_kmcnt 0x0
	s_cmp_eq_u32 s2, 0
	s_cbranch_scc1 .LBB1_42
.LBB1_198:
	v_mov_b32_e32 v1, 39
	s_lshl_b32 s2, s8, 2
	s_add_co_i32 s8, s8, 1
	scratch_store_b32 off, v1, s2
	s_wait_xcnt 0x0
	s_load_u8 s2, s[6:7], 0x28
	s_wait_kmcnt 0x0
	s_cmp_eq_u32 s2, 0
	s_cbranch_scc1 .LBB1_43
.LBB1_199:
	v_mov_b32_e32 v1, 40
	s_lshl_b32 s2, s8, 2
	s_add_co_i32 s8, s8, 1
	scratch_store_b32 off, v1, s2
	s_wait_xcnt 0x0
	s_load_u8 s2, s[6:7], 0x29
	s_wait_kmcnt 0x0
	s_cmp_eq_u32 s2, 0
	s_cbranch_scc1 .LBB1_44
.LBB1_200:
	v_mov_b32_e32 v1, 41
	s_lshl_b32 s2, s8, 2
	s_add_co_i32 s8, s8, 1
	scratch_store_b32 off, v1, s2
	s_wait_xcnt 0x0
	s_load_u8 s2, s[6:7], 0x2a
	s_wait_kmcnt 0x0
	s_cmp_eq_u32 s2, 0
	s_cbranch_scc1 .LBB1_45
.LBB1_201:
	v_mov_b32_e32 v1, 42
	s_lshl_b32 s2, s8, 2
	s_add_co_i32 s8, s8, 1
	scratch_store_b32 off, v1, s2
	s_wait_xcnt 0x0
	s_load_u8 s2, s[6:7], 0x2b
	s_wait_kmcnt 0x0
	s_cmp_eq_u32 s2, 0
	s_cbranch_scc1 .LBB1_46
.LBB1_202:
	v_mov_b32_e32 v1, 43
	s_lshl_b32 s2, s8, 2
	s_add_co_i32 s8, s8, 1
	scratch_store_b32 off, v1, s2
	s_wait_xcnt 0x0
	s_load_u8 s2, s[6:7], 0x2c
	s_wait_kmcnt 0x0
	s_cmp_eq_u32 s2, 0
	s_cbranch_scc0 .LBB1_47
	s_branch .LBB1_48
.LBB1_203:
	v_dual_mov_b32 v14, 0xd8635fa9 :: v_dual_mov_b32 v5, 0
	v_dual_mov_b32 v4, 0 :: v_dual_mov_b32 v3, 0
	v_mov_b32_e32 v2, 0
.LBB1_204:
	v_lshl_add_u32 v8, v0, 2, 0
	v_cvt_f32_u32_e32 v1, v0
	s_mov_b32 s4, 0
	s_mov_b32 s5, exec_lo
	ds_store_b32 v8, v14
	s_wait_storecnt_dscnt 0x0
	s_barrier_signal -1
	s_barrier_wait -1
	v_cmpx_gt_u32_e32 0x80, v0
	s_cbranch_execz .LBB1_209
; %bb.205:
	ds_load_2addr_stride64_b32 v[6:7], v8 offset1:2
	s_wait_dscnt 0x0
	v_cmp_ngt_f32_e64 s2, v7, v6
	v_cmp_ngt_f32_e64 s3, 0, v7
	v_cmp_gt_f32_e32 vcc_lo, 0, v7
	s_or_b32 s3, s3, s2
	s_mov_b32 s2, -1
	s_and_saveexec_b32 s6, s3
	s_cbranch_execnz .LBB1_252
; %bb.206:
	s_or_b32 exec_lo, exec_lo, s6
	v_mov_b32_e32 v6, v1
	s_and_saveexec_b32 s3, s2
	s_cbranch_execnz .LBB1_257
.LBB1_207:
	s_or_b32 exec_lo, exec_lo, s3
	s_delay_alu instid0(SALU_CYCLE_1)
	s_and_b32 exec_lo, exec_lo, s4
.LBB1_208:
	ds_store_b32 v8, v6 offset:512
.LBB1_209:
	s_or_b32 exec_lo, exec_lo, s5
	s_delay_alu instid0(SALU_CYCLE_1)
	s_mov_b32 s5, exec_lo
	s_wait_dscnt 0x0
	s_barrier_signal -1
	s_barrier_wait -1
	v_cmpx_gt_u32_e32 64, v0
	s_cbranch_execz .LBB1_214
; %bb.210:
	ds_load_2addr_stride64_b32 v[6:7], v8 offset1:1
	s_mov_b32 s4, 0
	s_wait_dscnt 0x0
	v_cmp_ngt_f32_e64 s2, v7, v6
	v_cmp_ngt_f32_e64 s3, 0, v7
	v_cmp_gt_f32_e32 vcc_lo, 0, v7
	s_or_b32 s3, s3, s2
	s_mov_b32 s2, -1
	s_and_saveexec_b32 s6, s3
	s_cbranch_execnz .LBB1_258
; %bb.211:
	s_or_b32 exec_lo, exec_lo, s6
	v_mov_b32_e32 v6, v1
	s_and_saveexec_b32 s3, s2
	s_cbranch_execnz .LBB1_263
.LBB1_212:
	s_or_b32 exec_lo, exec_lo, s3
	s_delay_alu instid0(SALU_CYCLE_1)
	s_and_b32 exec_lo, exec_lo, s4
.LBB1_213:
	ds_store_b32 v8, v6 offset:256
.LBB1_214:
	s_or_b32 exec_lo, exec_lo, s5
	s_delay_alu instid0(SALU_CYCLE_1)
	s_mov_b32 s5, exec_lo
	s_wait_dscnt 0x0
	s_barrier_signal -1
	s_barrier_wait -1
	v_cmpx_gt_u32_e32 32, v0
	s_cbranch_execz .LBB1_219
; %bb.215:
	ds_load_2addr_b32 v[6:7], v8 offset1:32
	s_mov_b32 s4, 0
	s_wait_dscnt 0x0
	v_cmp_ngt_f32_e64 s2, v7, v6
	v_cmp_ngt_f32_e64 s3, 0, v7
	v_cmp_gt_f32_e32 vcc_lo, 0, v7
	s_or_b32 s3, s3, s2
	s_mov_b32 s2, -1
	s_and_saveexec_b32 s6, s3
	s_cbranch_execnz .LBB1_264
; %bb.216:
	s_or_b32 exec_lo, exec_lo, s6
	v_mov_b32_e32 v6, v1
	s_and_saveexec_b32 s3, s2
	s_cbranch_execnz .LBB1_269
.LBB1_217:
	s_or_b32 exec_lo, exec_lo, s3
	s_delay_alu instid0(SALU_CYCLE_1)
	s_and_b32 exec_lo, exec_lo, s4
.LBB1_218:
	ds_store_b32 v8, v6 offset:128
.LBB1_219:
	s_or_b32 exec_lo, exec_lo, s5
	s_delay_alu instid0(SALU_CYCLE_1)
	s_mov_b32 s5, exec_lo
	s_wait_dscnt 0x0
	s_barrier_signal -1
	s_barrier_wait -1
	v_cmpx_gt_u32_e32 16, v0
	s_cbranch_execz .LBB1_224
; %bb.220:
	ds_load_2addr_b32 v[6:7], v8 offset1:16
	s_mov_b32 s4, 0
	s_wait_dscnt 0x0
	v_cmp_ngt_f32_e64 s2, v7, v6
	v_cmp_ngt_f32_e64 s3, 0, v7
	v_cmp_gt_f32_e32 vcc_lo, 0, v7
	s_or_b32 s3, s3, s2
	s_mov_b32 s2, -1
	s_and_saveexec_b32 s6, s3
	s_cbranch_execnz .LBB1_270
; %bb.221:
	s_or_b32 exec_lo, exec_lo, s6
	v_mov_b32_e32 v6, v1
	s_and_saveexec_b32 s3, s2
	s_cbranch_execnz .LBB1_275
.LBB1_222:
	s_or_b32 exec_lo, exec_lo, s3
	s_delay_alu instid0(SALU_CYCLE_1)
	s_and_b32 exec_lo, exec_lo, s4
.LBB1_223:
	ds_store_b32 v8, v6 offset:64
.LBB1_224:
	s_or_b32 exec_lo, exec_lo, s5
	s_delay_alu instid0(SALU_CYCLE_1)
	s_mov_b32 s5, exec_lo
	s_wait_dscnt 0x0
	s_barrier_signal -1
	s_barrier_wait -1
	v_cmpx_gt_u32_e32 8, v0
	s_cbranch_execz .LBB1_229
; %bb.225:
	ds_load_2addr_b32 v[6:7], v8 offset1:8
	s_mov_b32 s4, 0
	s_wait_dscnt 0x0
	v_cmp_ngt_f32_e64 s2, v7, v6
	v_cmp_ngt_f32_e64 s3, 0, v7
	v_cmp_gt_f32_e32 vcc_lo, 0, v7
	s_or_b32 s3, s3, s2
	s_mov_b32 s2, -1
	s_and_saveexec_b32 s6, s3
	s_cbranch_execnz .LBB1_276
; %bb.226:
	s_or_b32 exec_lo, exec_lo, s6
	v_mov_b32_e32 v6, v1
	s_and_saveexec_b32 s3, s2
	s_cbranch_execnz .LBB1_281
.LBB1_227:
	s_or_b32 exec_lo, exec_lo, s3
	s_delay_alu instid0(SALU_CYCLE_1)
	s_and_b32 exec_lo, exec_lo, s4
.LBB1_228:
	ds_store_b32 v8, v6 offset:32
.LBB1_229:
	s_or_b32 exec_lo, exec_lo, s5
	s_delay_alu instid0(SALU_CYCLE_1)
	s_mov_b32 s5, exec_lo
	s_wait_dscnt 0x0
	s_barrier_signal -1
	s_barrier_wait -1
	v_cmpx_gt_u32_e32 4, v0
	s_cbranch_execz .LBB1_234
; %bb.230:
	ds_load_2addr_b32 v[6:7], v8 offset1:4
	s_mov_b32 s4, 0
	s_wait_dscnt 0x0
	v_cmp_ngt_f32_e64 s2, v7, v6
	v_cmp_ngt_f32_e64 s3, 0, v7
	v_cmp_gt_f32_e32 vcc_lo, 0, v7
	s_or_b32 s3, s3, s2
	s_mov_b32 s2, -1
	s_and_saveexec_b32 s6, s3
	s_cbranch_execnz .LBB1_282
; %bb.231:
	s_or_b32 exec_lo, exec_lo, s6
	v_mov_b32_e32 v6, v1
	s_and_saveexec_b32 s3, s2
	s_cbranch_execnz .LBB1_287
.LBB1_232:
	s_or_b32 exec_lo, exec_lo, s3
	s_delay_alu instid0(SALU_CYCLE_1)
	s_and_b32 exec_lo, exec_lo, s4
.LBB1_233:
	ds_store_b32 v8, v6 offset:16
.LBB1_234:
	s_or_b32 exec_lo, exec_lo, s5
	s_delay_alu instid0(SALU_CYCLE_1)
	s_mov_b32 s5, exec_lo
	s_wait_dscnt 0x0
	s_barrier_signal -1
	s_barrier_wait -1
	v_cmpx_gt_u32_e32 2, v0
	s_cbranch_execz .LBB1_239
; %bb.235:
	ds_load_2addr_b32 v[6:7], v8 offset1:2
	s_mov_b32 s4, 0
	s_wait_dscnt 0x0
	v_cmp_ngt_f32_e64 s2, v7, v6
	v_cmp_ngt_f32_e64 s3, 0, v7
	v_cmp_gt_f32_e32 vcc_lo, 0, v7
	s_or_b32 s3, s3, s2
	s_mov_b32 s2, -1
	s_and_saveexec_b32 s6, s3
	s_cbranch_execnz .LBB1_288
; %bb.236:
	s_or_b32 exec_lo, exec_lo, s6
	v_mov_b32_e32 v6, v1
	s_and_saveexec_b32 s3, s2
	s_cbranch_execnz .LBB1_293
.LBB1_237:
	s_or_b32 exec_lo, exec_lo, s3
	s_delay_alu instid0(SALU_CYCLE_1)
	s_and_b32 exec_lo, exec_lo, s4
.LBB1_238:
	ds_store_b32 v8, v6 offset:8
.LBB1_239:
	s_or_b32 exec_lo, exec_lo, s5
	v_cmp_eq_u32_e32 vcc_lo, 0, v0
	s_wait_dscnt 0x0
	s_barrier_signal -1
	s_barrier_wait -1
	s_and_saveexec_b32 s5, vcc_lo
	s_cbranch_execz .LBB1_244
; %bb.240:
	v_mov_b32_e32 v6, 0
	s_mov_b32 s3, 0
	ds_load_b32 v6, v6 offset:4
	ds_load_b32 v7, v8
	s_wait_dscnt 0x1
	v_readfirstlane_b32 s2, v6
	s_cmp_lt_f32 s2, 0
	s_cselect_b32 s7, -1, 0
	s_cmp_nlt_f32 s2, 0
	s_wait_dscnt 0x0
	v_cmp_ngt_f32_e64 s2, v6, v7
	s_cselect_b32 s4, -1, 0
	s_delay_alu instid0(SALU_CYCLE_1)
	s_or_b32 s4, s4, s2
	s_mov_b32 s2, -1
	s_and_saveexec_b32 s6, s4
	s_cbranch_execnz .LBB1_294
; %bb.241:
	s_or_b32 exec_lo, exec_lo, s6
	s_and_saveexec_b32 s4, s2
	s_cbranch_execnz .LBB1_299
.LBB1_242:
	s_or_b32 exec_lo, exec_lo, s4
	s_delay_alu instid0(SALU_CYCLE_1)
	s_and_b32 exec_lo, exec_lo, s3
.LBB1_243:
	v_mov_b32_e32 v6, 0
	ds_store_b32 v6, v1 offset:4
.LBB1_244:
	s_or_b32 exec_lo, exec_lo, s5
	s_load_b128 s[0:3], s[0:1], 0x20
	s_wait_dscnt 0x0
	s_barrier_signal -1
	s_barrier_wait -1
	s_and_saveexec_b32 s4, vcc_lo
	s_cbranch_execz .LBB1_249
; %bb.245:
	v_mov_b32_e32 v1, 0
	ds_load_2addr_b32 v[6:7], v1 offset1:1
	s_wait_dscnt 0x0
	v_cvt_i32_f32_e32 v1, v7
	v_mov_b32_e32 v7, s16
	s_delay_alu instid0(VALU_DEP_2)
	v_cmp_lt_u32_e32 vcc_lo, 0x7f, v1
	s_wait_kmcnt 0x0
	global_store_b32 v7, v6, s[0:1] scale_offset
	s_cbranch_vccnz .LBB1_248
; %bb.246:
	s_wait_xcnt 0x0
	s_mov_b32 s0, 1
.LBB1_247:                              ; =>This Inner Loop Header: Depth=1
	s_delay_alu instid0(SALU_CYCLE_1) | instskip(SKIP_1) | instid1(SALU_CYCLE_2)
	s_cvt_f32_u32 s1, s0
	v_lshlrev_b32_e32 v1, 2, v1
	s_mul_f32 s5, s1, 0x3f317218
	s_delay_alu instid0(VALU_DEP_1) | instskip(NEXT) | instid1(SALU_CYCLE_2)
	v_add_nc_u32_e32 v1, 0, v1
	s_xor_b32 s6, s5, 0x80000000
	s_cmp_neq_f32 s5, 0x7f800000
	s_fmamk_f32 s6, s1, 0x3f317218, s6
	s_delay_alu instid0(SALU_CYCLE_3) | instskip(NEXT) | instid1(SALU_CYCLE_3)
	s_fmamk_f32 s1, s1, 0xb102e308, s6
	s_add_f32 s6, s5, s1
	s_delay_alu instid0(SALU_CYCLE_3) | instskip(SKIP_1) | instid1(SALU_CYCLE_1)
	s_sub_f32 s5, s6, s5
	s_cselect_b32 s6, s6, 0x7f800000
	s_and_b32 s7, s6, 0x7fffffff
	s_delay_alu instid0(SALU_CYCLE_1) | instskip(SKIP_1) | instid1(SALU_CYCLE_2)
	s_sub_f32 s1, s1, s5
	s_cmp_neq_f32 s7, 0x7f800000
	s_cselect_b32 s1, s1, 0
	s_cmp_eq_f32 s6, 0x42b17218
	s_cselect_b32 s5, 0x37000000, 0
	s_delay_alu instid0(SALU_CYCLE_1) | instskip(SKIP_1) | instid1(SALU_CYCLE_2)
	s_sub_f32 s6, s6, s5
	s_add_f32 s1, s5, s1
	s_mul_f32 s7, s6, 0x3fb8aa3b
	s_delay_alu instid0(SALU_CYCLE_3) | instskip(SKIP_3) | instid1(SALU_CYCLE_1)
	s_xor_b32 s8, s7, 0x80000000
	s_rndne_f32 s9, s7
	s_fmamk_f32 s8, s6, 0x3fb8aa3b, s8
	s_cmp_nlt_f32 s6, 0xc2ce8ed0
	s_sub_f32 s7, s7, s9
	s_delay_alu instid0(SALU_CYCLE_1) | instskip(NEXT) | instid1(SALU_CYCLE_3)
	s_fmamk_f32 s8, s6, 0x32a5705f, s8
	s_add_f32 s7, s7, s8
	s_cvt_i32_f32 s8, s9
	s_delay_alu instid0(SALU_CYCLE_2)
	v_s_exp_f32 s7, s7
	v_nop
	s_delay_alu instid0(TRANS32_DEP_1) | instid1(SALU_CYCLE_1)
	v_ldexp_f32 v6, s7, s8
	s_delay_alu instid0(VALU_DEP_1) | instskip(SKIP_3) | instid1(SALU_CYCLE_1)
	v_readfirstlane_b32 s7, v6
	s_cselect_b32 s7, s7, 0
	s_cmp_ngt_f32 s6, 0x42b17218
	s_cselect_b32 s5, s7, 0x7f800000
	s_mov_b32 s6, s5
	v_cmp_class_f32_e64 s7, s5, 0x204
	s_fmac_f32 s6, s5, s1
	s_and_b32 s1, s7, exec_lo
	s_delay_alu instid0(SALU_CYCLE_2) | instskip(NEXT) | instid1(SALU_CYCLE_1)
	s_cselect_b32 s1, s5, s6
	s_bitset0_b32 s1, 31
	s_delay_alu instid0(SALU_CYCLE_1) | instskip(NEXT) | instid1(SALU_CYCLE_3)
	s_cvt_i32_f32 s1, s1
	s_lshl_b32 s1, s1, 2
	s_delay_alu instid0(SALU_CYCLE_1)
	v_add_nc_u32_e32 v1, s1, v1
	s_add_co_i32 s1, s0, 1
	s_cmp_lt_u32 s0, 6
	s_cselect_b32 s0, -1, 0
	ds_load_b32 v1, v1
	s_wait_dscnt 0x0
	v_cvt_i32_f32_e32 v1, v1
	s_delay_alu instid0(VALU_DEP_1) | instskip(SKIP_1) | instid1(SALU_CYCLE_1)
	v_cmp_gt_u32_e32 vcc_lo, 0x80, v1
	s_and_b32 s0, s0, vcc_lo
	s_and_b32 vcc_lo, exec_lo, s0
	s_mov_b32 s0, s1
	s_cbranch_vccnz .LBB1_247
.LBB1_248:
	v_cvt_f32_i32_e32 v1, v1
	s_wait_xcnt 0x0
	v_mov_b32_e32 v6, 0
	ds_store_b32 v6, v1
.LBB1_249:
	s_or_b32 exec_lo, exec_lo, s4
	v_mov_b32_e32 v1, 0
	s_wait_storecnt_dscnt 0x0
	s_barrier_signal -1
	s_barrier_wait -1
	ds_load_b32 v6, v1
	s_wait_kmcnt 0x0
	s_mov_b32 s1, 0
	s_mov_b32 s0, exec_lo
	s_wait_dscnt 0x0
	v_cvt_i32_f32_e32 v6, v6
	s_delay_alu instid0(VALU_DEP_1)
	v_cmpx_eq_u32_e64 v0, v6
	s_cbranch_execz .LBB1_251
; %bb.250:
	s_lshl_b32 s0, s16, 2
	s_delay_alu instid0(SALU_CYCLE_1) | instskip(NEXT) | instid1(SALU_CYCLE_1)
	s_lshl_b64 s[0:1], s[0:1], 2
	s_add_nc_u64 s[0:1], s[2:3], s[0:1]
	global_store_b128 v1, v[2:5], s[0:1]
.LBB1_251:
	s_endpgm
.LBB1_252:
	v_cmp_nlt_f32_e64 s3, v7, v6
	v_cmp_ngt_f32_e64 s4, 0, v6
	v_cmp_gt_f32_e64 s2, 0, v6
	s_mov_b32 s7, 0
	s_or_b32 s8, s3, s4
	s_mov_b32 s3, -1
	s_and_saveexec_b32 s4, s8
	s_cbranch_execz .LBB1_256
; %bb.253:
	v_cmp_nlt_f32_e64 s3, 0, v6
	s_xor_b32 s9, vcc_lo, -1
	s_mov_b32 s8, -1
	s_or_b32 s9, s9, s3
	s_delay_alu instid0(SALU_CYCLE_1)
	s_and_saveexec_b32 s3, s9
; %bb.254:
	v_cmp_lt_f32_e32 vcc_lo, 0, v7
	s_xor_b32 s8, exec_lo, -1
	s_and_b32 s2, vcc_lo, s2
	s_delay_alu instid0(SALU_CYCLE_1)
	s_and_b32 s7, s2, exec_lo
; %bb.255:
	s_or_b32 exec_lo, exec_lo, s3
	s_delay_alu instid0(SALU_CYCLE_1)
	s_or_not1_b32 s3, s7, exec_lo
	s_and_b32 s7, s8, exec_lo
.LBB1_256:
	s_or_b32 exec_lo, exec_lo, s4
	s_delay_alu instid0(SALU_CYCLE_1)
	s_and_b32 s4, s3, exec_lo
	s_or_not1_b32 s2, s7, exec_lo
	s_or_b32 exec_lo, exec_lo, s6
	v_mov_b32_e32 v6, v1
	s_and_saveexec_b32 s3, s2
	s_cbranch_execz .LBB1_207
.LBB1_257:
	v_or_b32_e32 v6, 0x80, v0
	s_or_b32 s4, s4, exec_lo
	ds_store_b32 v8, v7
	v_cvt_f32_u32_e32 v6, v6
	s_or_b32 exec_lo, exec_lo, s3
	s_delay_alu instid0(SALU_CYCLE_1)
	s_and_b32 exec_lo, exec_lo, s4
	s_cbranch_execnz .LBB1_208
	s_branch .LBB1_209
.LBB1_258:
	v_cmp_nlt_f32_e64 s3, v7, v6
	v_cmp_ngt_f32_e64 s4, 0, v6
	v_cmp_gt_f32_e64 s2, 0, v6
	s_mov_b32 s7, 0
	s_or_b32 s8, s3, s4
	s_mov_b32 s3, -1
	s_and_saveexec_b32 s4, s8
	s_cbranch_execz .LBB1_262
; %bb.259:
	v_cmp_nlt_f32_e64 s3, 0, v6
	s_xor_b32 s9, vcc_lo, -1
	s_mov_b32 s8, -1
	s_or_b32 s9, s9, s3
	s_delay_alu instid0(SALU_CYCLE_1)
	s_and_saveexec_b32 s3, s9
; %bb.260:
	v_cmp_lt_f32_e32 vcc_lo, 0, v7
	s_xor_b32 s8, exec_lo, -1
	s_and_b32 s2, vcc_lo, s2
	s_delay_alu instid0(SALU_CYCLE_1)
	s_and_b32 s7, s2, exec_lo
; %bb.261:
	s_or_b32 exec_lo, exec_lo, s3
	s_delay_alu instid0(SALU_CYCLE_1)
	s_or_not1_b32 s3, s7, exec_lo
	s_and_b32 s7, s8, exec_lo
.LBB1_262:
	s_or_b32 exec_lo, exec_lo, s4
	s_delay_alu instid0(SALU_CYCLE_1)
	s_and_b32 s4, s3, exec_lo
	s_or_not1_b32 s2, s7, exec_lo
	s_or_b32 exec_lo, exec_lo, s6
	v_mov_b32_e32 v6, v1
	s_and_saveexec_b32 s3, s2
	s_cbranch_execz .LBB1_212
.LBB1_263:
	v_or_b32_e32 v6, 64, v0
	s_or_b32 s4, s4, exec_lo
	ds_store_b32 v8, v7
	v_cvt_f32_u32_e32 v6, v6
	s_or_b32 exec_lo, exec_lo, s3
	s_delay_alu instid0(SALU_CYCLE_1)
	s_and_b32 exec_lo, exec_lo, s4
	s_cbranch_execnz .LBB1_213
	s_branch .LBB1_214
.LBB1_264:
	v_cmp_nlt_f32_e64 s3, v7, v6
	v_cmp_ngt_f32_e64 s4, 0, v6
	v_cmp_gt_f32_e64 s2, 0, v6
	s_mov_b32 s7, 0
	s_or_b32 s8, s3, s4
	s_mov_b32 s3, -1
	s_and_saveexec_b32 s4, s8
	s_cbranch_execz .LBB1_268
; %bb.265:
	v_cmp_nlt_f32_e64 s3, 0, v6
	s_xor_b32 s9, vcc_lo, -1
	s_mov_b32 s8, -1
	s_or_b32 s9, s9, s3
	s_delay_alu instid0(SALU_CYCLE_1)
	s_and_saveexec_b32 s3, s9
; %bb.266:
	v_cmp_lt_f32_e32 vcc_lo, 0, v7
	s_xor_b32 s8, exec_lo, -1
	s_and_b32 s2, vcc_lo, s2
	s_delay_alu instid0(SALU_CYCLE_1)
	s_and_b32 s7, s2, exec_lo
; %bb.267:
	s_or_b32 exec_lo, exec_lo, s3
	s_delay_alu instid0(SALU_CYCLE_1)
	s_or_not1_b32 s3, s7, exec_lo
	s_and_b32 s7, s8, exec_lo
.LBB1_268:
	s_or_b32 exec_lo, exec_lo, s4
	s_delay_alu instid0(SALU_CYCLE_1)
	s_and_b32 s4, s3, exec_lo
	s_or_not1_b32 s2, s7, exec_lo
	s_or_b32 exec_lo, exec_lo, s6
	v_mov_b32_e32 v6, v1
	s_and_saveexec_b32 s3, s2
	s_cbranch_execz .LBB1_217
.LBB1_269:
	v_or_b32_e32 v6, 32, v0
	s_or_b32 s4, s4, exec_lo
	ds_store_b32 v8, v7
	v_cvt_f32_u32_e32 v6, v6
	s_or_b32 exec_lo, exec_lo, s3
	s_delay_alu instid0(SALU_CYCLE_1)
	s_and_b32 exec_lo, exec_lo, s4
	s_cbranch_execnz .LBB1_218
	s_branch .LBB1_219
.LBB1_270:
	v_cmp_nlt_f32_e64 s3, v7, v6
	v_cmp_ngt_f32_e64 s4, 0, v6
	v_cmp_gt_f32_e64 s2, 0, v6
	s_mov_b32 s7, 0
	s_or_b32 s8, s3, s4
	s_mov_b32 s3, -1
	s_and_saveexec_b32 s4, s8
	s_cbranch_execz .LBB1_274
; %bb.271:
	v_cmp_nlt_f32_e64 s3, 0, v6
	s_xor_b32 s9, vcc_lo, -1
	s_mov_b32 s8, -1
	s_or_b32 s9, s9, s3
	s_delay_alu instid0(SALU_CYCLE_1)
	s_and_saveexec_b32 s3, s9
; %bb.272:
	v_cmp_lt_f32_e32 vcc_lo, 0, v7
	s_xor_b32 s8, exec_lo, -1
	s_and_b32 s2, vcc_lo, s2
	s_delay_alu instid0(SALU_CYCLE_1)
	s_and_b32 s7, s2, exec_lo
; %bb.273:
	s_or_b32 exec_lo, exec_lo, s3
	s_delay_alu instid0(SALU_CYCLE_1)
	s_or_not1_b32 s3, s7, exec_lo
	s_and_b32 s7, s8, exec_lo
.LBB1_274:
	s_or_b32 exec_lo, exec_lo, s4
	s_delay_alu instid0(SALU_CYCLE_1)
	s_and_b32 s4, s3, exec_lo
	s_or_not1_b32 s2, s7, exec_lo
	s_or_b32 exec_lo, exec_lo, s6
	v_mov_b32_e32 v6, v1
	s_and_saveexec_b32 s3, s2
	s_cbranch_execz .LBB1_222
.LBB1_275:
	v_or_b32_e32 v6, 16, v0
	s_or_b32 s4, s4, exec_lo
	ds_store_b32 v8, v7
	v_cvt_f32_u32_e32 v6, v6
	s_or_b32 exec_lo, exec_lo, s3
	s_delay_alu instid0(SALU_CYCLE_1)
	s_and_b32 exec_lo, exec_lo, s4
	s_cbranch_execnz .LBB1_223
	s_branch .LBB1_224
.LBB1_276:
	v_cmp_nlt_f32_e64 s3, v7, v6
	v_cmp_ngt_f32_e64 s4, 0, v6
	v_cmp_gt_f32_e64 s2, 0, v6
	s_mov_b32 s7, 0
	s_or_b32 s8, s3, s4
	s_mov_b32 s3, -1
	s_and_saveexec_b32 s4, s8
	s_cbranch_execz .LBB1_280
; %bb.277:
	v_cmp_nlt_f32_e64 s3, 0, v6
	s_xor_b32 s9, vcc_lo, -1
	s_mov_b32 s8, -1
	s_or_b32 s9, s9, s3
	s_delay_alu instid0(SALU_CYCLE_1)
	s_and_saveexec_b32 s3, s9
; %bb.278:
	v_cmp_lt_f32_e32 vcc_lo, 0, v7
	s_xor_b32 s8, exec_lo, -1
	s_and_b32 s2, vcc_lo, s2
	s_delay_alu instid0(SALU_CYCLE_1)
	s_and_b32 s7, s2, exec_lo
; %bb.279:
	s_or_b32 exec_lo, exec_lo, s3
	s_delay_alu instid0(SALU_CYCLE_1)
	s_or_not1_b32 s3, s7, exec_lo
	s_and_b32 s7, s8, exec_lo
.LBB1_280:
	s_or_b32 exec_lo, exec_lo, s4
	s_delay_alu instid0(SALU_CYCLE_1)
	s_and_b32 s4, s3, exec_lo
	s_or_not1_b32 s2, s7, exec_lo
	s_or_b32 exec_lo, exec_lo, s6
	v_mov_b32_e32 v6, v1
	s_and_saveexec_b32 s3, s2
	s_cbranch_execz .LBB1_227
.LBB1_281:
	v_or_b32_e32 v6, 8, v0
	s_or_b32 s4, s4, exec_lo
	ds_store_b32 v8, v7
	v_cvt_f32_u32_e32 v6, v6
	s_or_b32 exec_lo, exec_lo, s3
	s_delay_alu instid0(SALU_CYCLE_1)
	s_and_b32 exec_lo, exec_lo, s4
	s_cbranch_execnz .LBB1_228
	s_branch .LBB1_229
.LBB1_282:
	v_cmp_nlt_f32_e64 s3, v7, v6
	v_cmp_ngt_f32_e64 s4, 0, v6
	v_cmp_gt_f32_e64 s2, 0, v6
	s_mov_b32 s7, 0
	s_or_b32 s8, s3, s4
	s_mov_b32 s3, -1
	s_and_saveexec_b32 s4, s8
	s_cbranch_execz .LBB1_286
; %bb.283:
	v_cmp_nlt_f32_e64 s3, 0, v6
	s_xor_b32 s9, vcc_lo, -1
	s_mov_b32 s8, -1
	s_or_b32 s9, s9, s3
	s_delay_alu instid0(SALU_CYCLE_1)
	s_and_saveexec_b32 s3, s9
; %bb.284:
	v_cmp_lt_f32_e32 vcc_lo, 0, v7
	s_xor_b32 s8, exec_lo, -1
	s_and_b32 s2, vcc_lo, s2
	s_delay_alu instid0(SALU_CYCLE_1)
	s_and_b32 s7, s2, exec_lo
; %bb.285:
	s_or_b32 exec_lo, exec_lo, s3
	s_delay_alu instid0(SALU_CYCLE_1)
	s_or_not1_b32 s3, s7, exec_lo
	s_and_b32 s7, s8, exec_lo
.LBB1_286:
	s_or_b32 exec_lo, exec_lo, s4
	s_delay_alu instid0(SALU_CYCLE_1)
	s_and_b32 s4, s3, exec_lo
	s_or_not1_b32 s2, s7, exec_lo
	s_or_b32 exec_lo, exec_lo, s6
	v_mov_b32_e32 v6, v1
	s_and_saveexec_b32 s3, s2
	s_cbranch_execz .LBB1_232
.LBB1_287:
	v_or_b32_e32 v6, 4, v0
	s_or_b32 s4, s4, exec_lo
	ds_store_b32 v8, v7
	v_cvt_f32_u32_e32 v6, v6
	s_or_b32 exec_lo, exec_lo, s3
	s_delay_alu instid0(SALU_CYCLE_1)
	s_and_b32 exec_lo, exec_lo, s4
	s_cbranch_execnz .LBB1_233
	s_branch .LBB1_234
.LBB1_288:
	v_cmp_nlt_f32_e64 s3, v7, v6
	v_cmp_ngt_f32_e64 s4, 0, v6
	v_cmp_gt_f32_e64 s2, 0, v6
	s_mov_b32 s7, 0
	s_or_b32 s8, s3, s4
	s_mov_b32 s3, -1
	s_and_saveexec_b32 s4, s8
	s_cbranch_execz .LBB1_292
; %bb.289:
	v_cmp_nlt_f32_e64 s3, 0, v6
	s_xor_b32 s9, vcc_lo, -1
	s_mov_b32 s8, -1
	s_or_b32 s9, s9, s3
	s_delay_alu instid0(SALU_CYCLE_1)
	s_and_saveexec_b32 s3, s9
; %bb.290:
	v_cmp_lt_f32_e32 vcc_lo, 0, v7
	s_xor_b32 s8, exec_lo, -1
	s_and_b32 s2, vcc_lo, s2
	s_delay_alu instid0(SALU_CYCLE_1)
	s_and_b32 s7, s2, exec_lo
; %bb.291:
	s_or_b32 exec_lo, exec_lo, s3
	s_delay_alu instid0(SALU_CYCLE_1)
	s_or_not1_b32 s3, s7, exec_lo
	s_and_b32 s7, s8, exec_lo
.LBB1_292:
	s_or_b32 exec_lo, exec_lo, s4
	s_delay_alu instid0(SALU_CYCLE_1)
	s_and_b32 s4, s3, exec_lo
	s_or_not1_b32 s2, s7, exec_lo
	s_or_b32 exec_lo, exec_lo, s6
	v_mov_b32_e32 v6, v1
	s_and_saveexec_b32 s3, s2
	s_cbranch_execz .LBB1_237
.LBB1_293:
	v_or_b32_e32 v6, 2, v0
	s_or_b32 s4, s4, exec_lo
	ds_store_b32 v8, v7
	v_cvt_f32_u32_e32 v6, v6
	s_or_b32 exec_lo, exec_lo, s3
	s_delay_alu instid0(SALU_CYCLE_1)
	s_and_b32 exec_lo, exec_lo, s4
	s_cbranch_execnz .LBB1_238
	s_branch .LBB1_239
.LBB1_294:
	v_cmp_nlt_f32_e64 s3, v6, v7
	v_cmp_ngt_f32_e64 s4, 0, v7
	v_cmp_gt_f32_e64 s2, 0, v7
	s_mov_b32 s8, 0
	s_or_b32 s9, s3, s4
	s_mov_b32 s3, -1
	s_and_saveexec_b32 s4, s9
	s_cbranch_execz .LBB1_298
; %bb.295:
	v_cmp_nlt_f32_e64 s3, 0, v7
	s_xor_b32 s9, s7, -1
	s_mov_b32 s7, -1
	s_or_b32 s3, s9, s3
	s_delay_alu instid0(SALU_CYCLE_1)
	s_and_saveexec_b32 s9, s3
; %bb.296:
	v_cmp_lt_f32_e64 s3, 0, v6
	s_xor_b32 s7, exec_lo, -1
	s_and_b32 s2, s3, s2
	s_delay_alu instid0(SALU_CYCLE_1)
	s_and_b32 s8, s2, exec_lo
; %bb.297:
	s_or_b32 exec_lo, exec_lo, s9
	s_delay_alu instid0(SALU_CYCLE_1)
	s_or_not1_b32 s3, s8, exec_lo
	s_and_b32 s8, s7, exec_lo
.LBB1_298:
	s_or_b32 exec_lo, exec_lo, s4
	s_delay_alu instid0(SALU_CYCLE_1)
	s_and_b32 s3, s3, exec_lo
	s_or_not1_b32 s2, s8, exec_lo
	s_or_b32 exec_lo, exec_lo, s6
	s_and_saveexec_b32 s4, s2
	s_cbranch_execz .LBB1_242
.LBB1_299:
	v_mov_b32_e32 v1, 1.0
	s_or_b32 s3, s3, exec_lo
	ds_store_b32 v8, v6
	s_or_b32 exec_lo, exec_lo, s4
	s_delay_alu instid0(SALU_CYCLE_1)
	s_and_b32 exec_lo, exec_lo, s3
	s_cbranch_execnz .LBB1_243
	s_branch .LBB1_244
	.section	.rodata,"a",@progbits
	.p2align	6, 0x0
	.amdhsa_kernel _Z13computeKerneliiPKfPKbiiPfPi
		.amdhsa_group_segment_fixed_size 0
		.amdhsa_private_segment_fixed_size 224
		.amdhsa_kernarg_size 48
		.amdhsa_user_sgpr_count 2
		.amdhsa_user_sgpr_dispatch_ptr 0
		.amdhsa_user_sgpr_queue_ptr 0
		.amdhsa_user_sgpr_kernarg_segment_ptr 1
		.amdhsa_user_sgpr_dispatch_id 0
		.amdhsa_user_sgpr_kernarg_preload_length 0
		.amdhsa_user_sgpr_kernarg_preload_offset 0
		.amdhsa_user_sgpr_private_segment_size 0
		.amdhsa_wavefront_size32 1
		.amdhsa_uses_dynamic_stack 0
		.amdhsa_enable_private_segment 1
		.amdhsa_system_sgpr_workgroup_id_x 1
		.amdhsa_system_sgpr_workgroup_id_y 0
		.amdhsa_system_sgpr_workgroup_id_z 0
		.amdhsa_system_sgpr_workgroup_info 0
		.amdhsa_system_vgpr_workitem_id 0
		.amdhsa_next_free_vgpr 31
		.amdhsa_next_free_sgpr 31
		.amdhsa_named_barrier_count 0
		.amdhsa_reserve_vcc 1
		.amdhsa_float_round_mode_32 0
		.amdhsa_float_round_mode_16_64 0
		.amdhsa_float_denorm_mode_32 3
		.amdhsa_float_denorm_mode_16_64 3
		.amdhsa_fp16_overflow 0
		.amdhsa_memory_ordered 1
		.amdhsa_forward_progress 1
		.amdhsa_inst_pref_size 83
		.amdhsa_round_robin_scheduling 0
		.amdhsa_exception_fp_ieee_invalid_op 0
		.amdhsa_exception_fp_denorm_src 0
		.amdhsa_exception_fp_ieee_div_zero 0
		.amdhsa_exception_fp_ieee_overflow 0
		.amdhsa_exception_fp_ieee_underflow 0
		.amdhsa_exception_fp_ieee_inexact 0
		.amdhsa_exception_int_div_zero 0
	.end_amdhsa_kernel
	.text
.Lfunc_end1:
	.size	_Z13computeKerneliiPKfPKbiiPfPi, .Lfunc_end1-_Z13computeKerneliiPKfPKbiiPfPi
                                        ; -- End function
	.set _Z13computeKerneliiPKfPKbiiPfPi.num_vgpr, 31
	.set _Z13computeKerneliiPKfPKbiiPfPi.num_agpr, 0
	.set _Z13computeKerneliiPKfPKbiiPfPi.numbered_sgpr, 31
	.set _Z13computeKerneliiPKfPKbiiPfPi.num_named_barrier, 0
	.set _Z13computeKerneliiPKfPKbiiPfPi.private_seg_size, 224
	.set _Z13computeKerneliiPKfPKbiiPfPi.uses_vcc, 1
	.set _Z13computeKerneliiPKfPKbiiPfPi.uses_flat_scratch, 1
	.set _Z13computeKerneliiPKfPKbiiPfPi.has_dyn_sized_stack, 0
	.set _Z13computeKerneliiPKfPKbiiPfPi.has_recursion, 0
	.set _Z13computeKerneliiPKfPKbiiPfPi.has_indirect_call, 0
	.section	.AMDGPU.csdata,"",@progbits
; Kernel info:
; codeLenInByte = 10524
; TotalNumSgprs: 33
; NumVgprs: 31
; ScratchSize: 224
; MemoryBound: 0
; FloatMode: 240
; IeeeMode: 1
; LDSByteSize: 0 bytes/workgroup (compile time only)
; SGPRBlocks: 0
; VGPRBlocks: 1
; NumSGPRsForWavesPerEU: 33
; NumVGPRsForWavesPerEU: 31
; NamedBarCnt: 0
; Occupancy: 16
; WaveLimiterHint : 0
; COMPUTE_PGM_RSRC2:SCRATCH_EN: 1
; COMPUTE_PGM_RSRC2:USER_SGPR: 2
; COMPUTE_PGM_RSRC2:TRAP_HANDLER: 0
; COMPUTE_PGM_RSRC2:TGID_X_EN: 1
; COMPUTE_PGM_RSRC2:TGID_Y_EN: 0
; COMPUTE_PGM_RSRC2:TGID_Z_EN: 0
; COMPUTE_PGM_RSRC2:TIDIG_COMP_CNT: 0
	.text
	.p2alignl 7, 3214868480
	.fill 96, 4, 3214868480
	.section	.AMDGPU.gpr_maximums,"",@progbits
	.set amdgpu.max_num_vgpr, 0
	.set amdgpu.max_num_agpr, 0
	.set amdgpu.max_num_sgpr, 0
	.text
	.type	__const._Z13computeKerneliiPKfPKbiiPfPi.parent,@object ; @__const._Z13computeKerneliiPKfPKbiiPfPi.parent
	.section	.rodata,"a",@progbits
	.p2align	4, 0x0
__const._Z13computeKerneliiPKfPKbiiPfPi.parent:
	.long	4294967295                      ; 0xffffffff
	.long	0                               ; 0x0
	.long	0                               ; 0x0
	;; [unrolled: 1-line block ×4, first 2 shown]
	.size	__const._Z13computeKerneliiPKfPKbiiPfPi.parent, 20

	.type	__hip_cuid_603e465bb4660dc3,@object ; @__hip_cuid_603e465bb4660dc3
	.section	.bss,"aw",@nobits
	.globl	__hip_cuid_603e465bb4660dc3
__hip_cuid_603e465bb4660dc3:
	.byte	0                               ; 0x0
	.size	__hip_cuid_603e465bb4660dc3, 1

	.ident	"AMD clang version 22.0.0git (https://github.com/RadeonOpenCompute/llvm-project roc-7.2.4 26084 f58b06dce1f9c15707c5f808fd002e18c2accf7e)"
	.section	".note.GNU-stack","",@progbits
	.addrsig
	.addrsig_sym __hip_cuid_603e465bb4660dc3
	.amdgpu_metadata
---
amdhsa.kernels:
  - .args:
      - .offset:         0
        .size:           4
        .value_kind:     by_value
      - .address_space:  global
        .offset:         8
        .size:           8
        .value_kind:     global_buffer
      - .address_space:  global
        .offset:         16
        .size:           8
        .value_kind:     global_buffer
      - .address_space:  global
        .offset:         24
        .size:           8
        .value_kind:     global_buffer
    .group_segment_fixed_size: 0
    .kernarg_segment_align: 8
    .kernarg_segment_size: 32
    .language:       OpenCL C
    .language_version:
      - 2
      - 0
    .max_flat_workgroup_size: 1024
    .name:           _Z14genScoreKerneliPfPKiPKf
    .private_segment_fixed_size: 192
    .sgpr_count:     34
    .sgpr_spill_count: 0
    .symbol:         _Z14genScoreKerneliPfPKiPKf.kd
    .uniform_work_group_size: 1
    .uses_dynamic_stack: false
    .vgpr_count:     64
    .vgpr_spill_count: 0
    .wavefront_size: 32
  - .args:
      - .offset:         0
        .size:           4
        .value_kind:     by_value
      - .offset:         4
        .size:           4
        .value_kind:     by_value
      - .address_space:  global
        .offset:         8
        .size:           8
        .value_kind:     global_buffer
      - .address_space:  global
        .offset:         16
        .size:           8
        .value_kind:     global_buffer
      - .offset:         24
        .size:           4
        .value_kind:     by_value
      - .offset:         28
        .size:           4
        .value_kind:     by_value
      - .address_space:  global
        .offset:         32
        .size:           8
        .value_kind:     global_buffer
      - .address_space:  global
        .offset:         40
        .size:           8
        .value_kind:     global_buffer
    .group_segment_fixed_size: 0
    .kernarg_segment_align: 8
    .kernarg_segment_size: 48
    .language:       OpenCL C
    .language_version:
      - 2
      - 0
    .max_flat_workgroup_size: 1024
    .name:           _Z13computeKerneliiPKfPKbiiPfPi
    .private_segment_fixed_size: 224
    .sgpr_count:     33
    .sgpr_spill_count: 0
    .symbol:         _Z13computeKerneliiPKfPKbiiPfPi.kd
    .uniform_work_group_size: 1
    .uses_dynamic_stack: false
    .vgpr_count:     31
    .vgpr_spill_count: 0
    .wavefront_size: 32
amdhsa.target:   amdgcn-amd-amdhsa--gfx1250
amdhsa.version:
  - 1
  - 2
...

	.end_amdgpu_metadata
